;; amdgpu-corpus repo=zjin-lcf/HeCBench kind=compiled arch=gfx1100 opt=O3
	.text
	.amdgcn_target "amdgcn-amd-amdhsa--gfx1100"
	.amdhsa_code_object_version 6
	.section	.text._Z17workloadDiagonalsIjEvPKT_jS2_jPj,"axG",@progbits,_Z17workloadDiagonalsIjEvPKT_jS2_jPj,comdat
	.protected	_Z17workloadDiagonalsIjEvPKT_jS2_jPj ; -- Begin function _Z17workloadDiagonalsIjEvPKT_jS2_jPj
	.globl	_Z17workloadDiagonalsIjEvPKT_jS2_jPj
	.p2align	8
	.type	_Z17workloadDiagonalsIjEvPKT_jS2_jPj,@function
_Z17workloadDiagonalsIjEvPKT_jS2_jPj:   ; @_Z17workloadDiagonalsIjEvPKT_jS2_jPj
; %bb.0:
	s_clause 0x4
	s_load_b64 s[4:5], s[0:1], 0x0
	s_load_b32 s21, s[0:1], 0x8
	s_load_b64 s[10:11], s[0:1], 0x10
	s_load_b32 s20, s[0:1], 0x18
	s_load_b64 s[6:7], s[0:1], 0x20
	v_cmp_ne_u32_e64 s2, 0, v0
	s_mov_b32 s8, s15
	s_mov_b32 s12, 0
	s_mov_b32 s3, exec_lo
	v_cmpx_eq_u32_e32 0, v0
	s_cbranch_execz .LBB0_5
; %bb.1:
	s_load_b32 s9, s[0:1], 0x28
	s_waitcnt lgkmcnt(0)
	s_add_u32 s14, s20, s21
	s_addc_u32 s13, 0, 0
	s_mul_hi_u32 s15, s14, s8
	s_mul_i32 s13, s13, s8
	s_delay_alu instid0(SALU_CYCLE_1) | instskip(NEXT) | instid1(SALU_CYCLE_1)
	s_add_i32 s13, s15, s13
	s_cmp_lg_u64 s[12:13], 0
	s_mul_i32 s12, s14, s8
	s_cbranch_scc0 .LBB0_21
; %bb.2:
	v_cvt_f32_u32_e32 v1, s9
	s_sub_u32 s16, 0, s9
	s_subb_u32 s17, 0, 0
	s_delay_alu instid0(VALU_DEP_1) | instskip(NEXT) | instid1(VALU_DEP_1)
	v_fmamk_f32 v1, 0, 0x4f800000, v1
	v_rcp_f32_e32 v1, v1
	s_waitcnt_depctr 0xfff
	v_mul_f32_e32 v1, 0x5f7ffffc, v1
	s_delay_alu instid0(VALU_DEP_1) | instskip(NEXT) | instid1(VALU_DEP_1)
	v_mul_f32_e32 v2, 0x2f800000, v1
	v_trunc_f32_e32 v2, v2
	s_delay_alu instid0(VALU_DEP_1) | instskip(SKIP_1) | instid1(VALU_DEP_2)
	v_fmamk_f32 v1, v2, 0xcf800000, v1
	v_cvt_u32_f32_e32 v2, v2
	v_cvt_u32_f32_e32 v1, v1
	s_delay_alu instid0(VALU_DEP_2) | instskip(NEXT) | instid1(VALU_DEP_2)
	v_readfirstlane_b32 s14, v2
	v_readfirstlane_b32 s15, v1
	s_delay_alu instid0(VALU_DEP_2) | instskip(NEXT) | instid1(VALU_DEP_1)
	s_mul_i32 s18, s16, s14
	s_mul_hi_u32 s22, s16, s15
	s_mul_i32 s19, s17, s15
	s_add_i32 s18, s22, s18
	s_mul_i32 s23, s16, s15
	s_add_i32 s18, s18, s19
	s_mul_hi_u32 s22, s15, s23
	s_mul_hi_u32 s24, s14, s23
	s_mul_i32 s19, s14, s23
	s_mul_hi_u32 s23, s15, s18
	s_mul_i32 s15, s15, s18
	s_mul_hi_u32 s25, s14, s18
	s_add_u32 s15, s22, s15
	s_addc_u32 s22, 0, s23
	s_add_u32 s15, s15, s19
	s_mul_i32 s18, s14, s18
	s_addc_u32 s15, s22, s24
	s_addc_u32 s19, s25, 0
	s_add_u32 s15, s15, s18
	s_addc_u32 s18, 0, s19
	v_add_co_u32 v1, s15, v1, s15
	s_delay_alu instid0(VALU_DEP_1) | instskip(SKIP_1) | instid1(VALU_DEP_1)
	s_cmp_lg_u32 s15, 0
	s_addc_u32 s14, s14, s18
	v_readfirstlane_b32 s15, v1
	s_mul_i32 s18, s16, s14
	s_delay_alu instid0(VALU_DEP_1)
	s_mul_hi_u32 s19, s16, s15
	s_mul_i32 s17, s17, s15
	s_add_i32 s18, s19, s18
	s_mul_i32 s16, s16, s15
	s_add_i32 s18, s18, s17
	s_mul_hi_u32 s19, s14, s16
	s_mul_i32 s22, s14, s16
	s_mul_hi_u32 s16, s15, s16
	s_mul_hi_u32 s23, s15, s18
	s_mul_i32 s15, s15, s18
	s_mul_hi_u32 s17, s14, s18
	s_add_u32 s15, s16, s15
	s_addc_u32 s16, 0, s23
	s_add_u32 s15, s15, s22
	s_mul_i32 s18, s14, s18
	s_addc_u32 s15, s16, s19
	s_addc_u32 s16, s17, 0
	s_add_u32 s15, s15, s18
	s_addc_u32 s16, 0, s16
	v_add_co_u32 v1, s15, v1, s15
	s_delay_alu instid0(VALU_DEP_1) | instskip(SKIP_1) | instid1(VALU_DEP_1)
	s_cmp_lg_u32 s15, 0
	s_addc_u32 s14, s14, s16
	v_readfirstlane_b32 s15, v1
	s_mul_i32 s17, s12, s14
	s_mul_hi_u32 s16, s12, s14
	s_mul_hi_u32 s18, s13, s14
	s_mul_i32 s14, s13, s14
	s_mul_hi_u32 s19, s12, s15
	s_mul_hi_u32 s22, s13, s15
	s_mul_i32 s15, s13, s15
	s_add_u32 s17, s19, s17
	s_addc_u32 s16, 0, s16
	s_add_u32 s15, s17, s15
	s_addc_u32 s15, s16, s22
	s_addc_u32 s16, s18, 0
	s_add_u32 s14, s15, s14
	s_addc_u32 s15, 0, s16
	s_mul_i32 s18, s9, s14
	s_mul_hi_u32 s17, s9, s14
	v_sub_co_u32 v1, s18, s12, s18
	s_mul_i32 s15, s9, s15
	s_add_u32 s16, s14, 1
	s_add_i32 s17, s17, s15
	s_delay_alu instid0(VALU_DEP_1) | instskip(SKIP_3) | instid1(VALU_DEP_2)
	v_sub_co_u32 v2, s15, v1, s9
	s_add_u32 s19, s14, 2
	s_cmp_lg_u32 s18, 0
	v_mov_b32_e32 v3, s19
	v_cmp_le_u32_e32 vcc_lo, s9, v2
	s_subb_u32 s13, s13, s17
	s_cmp_lg_u32 s15, 0
	s_subb_u32 s15, s13, 0
	v_cndmask_b32_e64 v2, 0, -1, vcc_lo
	v_cmp_le_u32_e32 vcc_lo, s9, v1
	s_cmp_eq_u32 s15, 0
	v_cndmask_b32_e64 v1, 0, -1, vcc_lo
	s_cselect_b32 vcc_lo, -1, 0
	s_cmp_eq_u32 s13, 0
	v_cndmask_b32_e32 v2, -1, v2, vcc_lo
	s_cselect_b32 vcc_lo, -1, 0
	v_cndmask_b32_e32 v1, -1, v1, vcc_lo
	s_delay_alu instid0(VALU_DEP_2) | instskip(SKIP_1) | instid1(VALU_DEP_3)
	v_cmp_ne_u32_e32 vcc_lo, 0, v2
	v_cndmask_b32_e32 v2, s16, v3, vcc_lo
	v_cmp_ne_u32_e32 vcc_lo, 0, v1
	s_delay_alu instid0(VALU_DEP_2)
	v_cndmask_b32_e32 v1, s14, v2, vcc_lo
	s_cbranch_execnz .LBB0_4
.LBB0_3:
	v_cvt_f32_u32_e32 v1, s9
	s_sub_i32 s14, 0, s9
	s_delay_alu instid0(VALU_DEP_1) | instskip(SKIP_2) | instid1(VALU_DEP_1)
	v_rcp_iflag_f32_e32 v1, v1
	s_waitcnt_depctr 0xfff
	v_mul_f32_e32 v1, 0x4f7ffffe, v1
	v_cvt_u32_f32_e32 v1, v1
	s_delay_alu instid0(VALU_DEP_1) | instskip(NEXT) | instid1(VALU_DEP_1)
	v_readfirstlane_b32 s13, v1
	s_mul_i32 s14, s14, s13
	s_delay_alu instid0(SALU_CYCLE_1) | instskip(NEXT) | instid1(SALU_CYCLE_1)
	s_mul_hi_u32 s14, s13, s14
	s_add_i32 s13, s13, s14
	s_delay_alu instid0(SALU_CYCLE_1) | instskip(NEXT) | instid1(SALU_CYCLE_1)
	s_mul_hi_u32 s13, s12, s13
	s_mul_i32 s14, s13, s9
	s_delay_alu instid0(SALU_CYCLE_1)
	s_sub_i32 s12, s12, s14
	s_add_i32 s14, s13, 1
	s_sub_i32 s15, s12, s9
	s_cmp_ge_u32 s12, s9
	s_cselect_b32 s14, s14, s13
	s_cselect_b32 s12, s15, s12
	s_add_i32 s15, s14, 1
	s_cmp_ge_u32 s12, s9
	s_mov_b32 s13, 0
	s_cselect_b32 s12, s15, s14
	s_delay_alu instid0(SALU_CYCLE_1)
	v_dual_mov_b32 v1, s12 :: v_dual_mov_b32 v2, s13
.LBB0_4:
	s_mov_b64 s[12:13], src_shared_base
	s_movk_i32 s12, 0x84
	s_delay_alu instid0(VALU_DEP_1)
	v_min_u32_e32 v6, s21, v1
	v_dual_mov_b32 v2, s12 :: v_dual_mov_b32 v3, s13
	s_movk_i32 s12, 0x88
	v_sub_nc_u32_e64 v1, v1, s21 clamp
	v_dual_mov_b32 v4, s12 :: v_dual_mov_b32 v5, s13
	flat_store_b32 v[2:3], v6 dlc
	s_waitcnt_vscnt null, 0x0
	flat_store_b32 v[4:5], v1 dlc
	s_waitcnt_vscnt null, 0x0
	flat_load_b32 v1, v[4:5] glc dlc
	s_waitcnt vmcnt(0)
	v_dual_mov_b32 v4, 0x8c :: v_dual_mov_b32 v5, s13
	s_waitcnt lgkmcnt(0)
	flat_store_b32 v[4:5], v1 dlc
	s_waitcnt_vscnt null, 0x0
	flat_load_b32 v1, v[2:3] glc dlc
	s_waitcnt vmcnt(0)
	v_mov_b32_e32 v4, 0x90
	s_waitcnt lgkmcnt(0)
	flat_store_b32 v[4:5], v1 dlc
	s_waitcnt_vscnt null, 0x0
	v_dual_mov_b32 v1, 0 :: v_dual_mov_b32 v4, 0x80
	flat_store_b32 v[4:5], v1 dlc
	s_waitcnt_vscnt null, 0x0
.LBB0_5:
	s_or_b32 exec_lo, exec_lo, s3
	s_mov_b64 s[12:13], src_shared_base
	s_delay_alu instid0(SALU_CYCLE_1)
	v_dual_mov_b32 v1, 0x80 :: v_dual_mov_b32 v2, s13
	s_waitcnt lgkmcnt(0)
	s_barrier
	buffer_gl0_inv
	s_mov_b32 s3, exec_lo
	flat_load_b32 v1, v[1:2] glc dlc
	s_waitcnt vmcnt(0) lgkmcnt(0)
	v_cmpx_ne_u32_e32 0, v1
	s_xor_b32 s3, exec_lo, s3
	s_delay_alu instid0(SALU_CYCLE_1)
	s_or_saveexec_b32 s22, s3
	v_mov_b32_e32 v1, s8
	s_xor_b32 exec_lo, exec_lo, s22
	s_cbranch_execz .LBB0_18
; %bb.6:
	s_mov_b32 s13, 0
	s_mov_b64 s[18:19], src_shared_base
	s_mov_b32 s9, s13
	s_movk_i32 s18, 0x84
	v_lshlrev_b32_e32 v15, 2, v0
	v_dual_mov_b32 v1, s18 :: v_dual_add_nc_u32 v16, -16, v0
	s_lshl_b64 s[14:15], s[8:9], 2
	v_mov_b32_e32 v2, s19
	s_movk_i32 s18, 0x88
	s_add_u32 s14, s6, s14
	s_addc_u32 s15, s7, s15
	v_dual_mov_b32 v5, s18 :: v_dual_mov_b32 v8, s19
	v_dual_mov_b32 v4, s19 :: v_dual_add_nc_u32 v17, -4, v15
	s_add_u32 s16, s0, 40
	v_cmp_eq_u32_e32 vcc_lo, 16, v0
	v_dual_mov_b32 v3, 0x8c :: v_dual_mov_b32 v6, s19
	v_dual_mov_b32 v7, 0x90 :: v_dual_mov_b32 v18, 1
	;; [unrolled: 1-line block ×4, first 2 shown]
	v_mov_b32_e32 v20, 0x88
	s_addc_u32 s17, s1, 0
	s_add_i32 s9, s8, 1
	s_add_u32 s18, s4, -4
	s_addc_u32 s23, s5, -1
	s_mov_b32 s5, 0
	s_branch .LBB0_8
.LBB0_7:                                ;   in Loop: Header=BB0_8 Depth=1
	s_or_b32 exec_lo, exec_lo, s4
	s_waitcnt lgkmcnt(0)
	s_barrier
	buffer_gl0_inv
	flat_load_b32 v9, v[11:12] glc dlc
	s_waitcnt vmcnt(0) lgkmcnt(0)
	v_cmp_ne_u32_e64 s3, 0, v9
	s_delay_alu instid0(VALU_DEP_1) | instskip(NEXT) | instid1(SALU_CYCLE_1)
	s_or_b32 s5, s3, s5
	s_and_not1_b32 exec_lo, exec_lo, s5
	s_cbranch_execz .LBB0_17
.LBB0_8:                                ; =>This Inner Loop Header: Depth=1
	flat_load_b32 v9, v[1:2] glc dlc
	s_waitcnt vmcnt(0)
	flat_load_b32 v13, v[1:2] glc dlc
	s_waitcnt vmcnt(0)
	;; [unrolled: 2-line block ×5, first 2 shown]
	flat_load_b32 v23, v[5:6] glc dlc
	s_waitcnt vmcnt(0) lgkmcnt(3)
	v_sub_nc_u32_e32 v13, v13, v14
	s_waitcnt lgkmcnt(0)
	v_sub_nc_u32_e32 v14, v22, v23
	s_delay_alu instid0(VALU_DEP_2) | instskip(NEXT) | instid1(VALU_DEP_1)
	v_ashrrev_i32_e32 v13, 1, v13
	v_add_nc_u32_e32 v13, v0, v13
	s_delay_alu instid0(VALU_DEP_1) | instskip(NEXT) | instid1(VALU_DEP_4)
	v_sub_nc_u32_e32 v9, v9, v13
	v_ashrrev_i32_e32 v13, 1, v14
	s_delay_alu instid0(VALU_DEP_2) | instskip(NEXT) | instid1(VALU_DEP_2)
	v_dual_mov_b32 v14, 0 :: v_dual_add_nc_u32 v9, 16, v9
	v_add3_u32 v13, v21, v16, v13
	s_delay_alu instid0(VALU_DEP_2) | instskip(NEXT) | instid1(VALU_DEP_2)
	v_cmp_gt_i32_e64 s3, s21, v9
	v_cmp_lt_i32_e64 s4, -1, v13
	s_delay_alu instid0(VALU_DEP_1) | instskip(NEXT) | instid1(SALU_CYCLE_1)
	s_and_b32 s3, s3, s4
	s_and_saveexec_b32 s12, s3
	s_cbranch_execz .LBB0_12
; %bb.9:                                ;   in Loop: Header=BB0_8 Depth=1
	v_cmp_gt_i32_e64 s3, s20, v13
	v_cmp_lt_i32_e64 s4, 0, v9
	v_mov_b32_e32 v14, 1
	s_delay_alu instid0(VALU_DEP_2) | instskip(NEXT) | instid1(SALU_CYCLE_1)
	s_and_b32 s3, s4, s3
	s_and_saveexec_b32 s4, s3
	s_cbranch_execz .LBB0_11
; %bb.10:                               ;   in Loop: Header=BB0_8 Depth=1
	v_mov_b32_e32 v14, v10
	v_lshlrev_b64 v[21:22], 2, v[9:10]
	s_delay_alu instid0(VALU_DEP_2) | instskip(NEXT) | instid1(VALU_DEP_2)
	v_lshlrev_b64 v[23:24], 2, v[13:14]
	v_add_co_u32 v21, s3, s18, v21
	s_delay_alu instid0(VALU_DEP_1) | instskip(NEXT) | instid1(VALU_DEP_3)
	v_add_co_ci_u32_e64 v22, s3, s23, v22, s3
	v_add_co_u32 v23, s3, s10, v23
	s_delay_alu instid0(VALU_DEP_1) | instskip(SKIP_4) | instid1(VALU_DEP_1)
	v_add_co_ci_u32_e64 v24, s3, s11, v24, s3
	global_load_b32 v14, v[21:22], off
	global_load_b32 v21, v[23:24], off
	s_waitcnt vmcnt(0)
	v_cmp_le_u32_e64 s3, v14, v21
	v_cndmask_b32_e64 v14, 0, 1, s3
.LBB0_11:                               ;   in Loop: Header=BB0_8 Depth=1
	s_or_b32 exec_lo, exec_lo, s4
.LBB0_12:                               ;   in Loop: Header=BB0_8 Depth=1
	s_delay_alu instid0(SALU_CYCLE_1)
	s_or_b32 exec_lo, exec_lo, s12
	ds_store_b32 v15, v14
	s_waitcnt lgkmcnt(0)
	s_barrier
	buffer_gl0_inv
	s_and_saveexec_b32 s4, s2
	s_cbranch_execz .LBB0_15
; %bb.13:                               ;   in Loop: Header=BB0_8 Depth=1
	ds_load_2addr_b32 v[21:22], v17 offset1:1
	s_waitcnt lgkmcnt(0)
	v_cmp_ne_u32_e64 s3, v22, v21
	s_delay_alu instid0(VALU_DEP_1)
	s_and_b32 exec_lo, exec_lo, s3
	s_cbranch_execz .LBB0_15
; %bb.14:                               ;   in Loop: Header=BB0_8 Depth=1
	flat_store_b32 v[11:12], v18 dlc
	s_waitcnt_vscnt null, 0x0
	s_load_b32 s3, s[16:17], 0x0
	s_waitcnt lgkmcnt(0)
	s_add_i32 s12, s9, s3
	s_delay_alu instid0(SALU_CYCLE_1) | instskip(NEXT) | instid1(SALU_CYCLE_1)
	s_lshl_b64 s[24:25], s[12:13], 2
	s_add_u32 s24, s6, s24
	s_addc_u32 s25, s7, s25
	s_clause 0x1
	global_store_b32 v10, v9, s[14:15]
	global_store_b32 v10, v13, s[24:25]
.LBB0_15:                               ;   in Loop: Header=BB0_8 Depth=1
	s_or_b32 exec_lo, exec_lo, s4
	s_waitcnt_vscnt null, 0x0
	s_barrier
	buffer_gl0_inv
	s_and_saveexec_b32 s4, vcc_lo
	s_cbranch_execz .LBB0_7
; %bb.16:                               ;   in Loop: Header=BB0_8 Depth=1
	ds_load_b32 v14, v10 offset:124
	v_mov_b32_e32 v22, s19
	v_mov_b32_e32 v24, s19
	s_waitcnt lgkmcnt(0)
	v_cmp_eq_u32_e64 s3, 0, v14
	s_delay_alu instid0(VALU_DEP_1)
	v_cndmask_b32_e64 v21, 0x8c, v19, s3
	v_cndmask_b32_e64 v23, 0x90, v20, s3
	flat_store_b32 v[21:22], v9 dlc
	s_waitcnt_vscnt null, 0x0
	flat_store_b32 v[23:24], v13 dlc
	s_waitcnt_vscnt null, 0x0
	s_branch .LBB0_7
.LBB0_17:
	s_or_b32 exec_lo, exec_lo, s5
	v_mov_b32_e32 v1, s8
.LBB0_18:
	s_or_b32 exec_lo, exec_lo, s22
	s_delay_alu instid0(VALU_DEP_1) | instskip(SKIP_2) | instid1(VALU_DEP_1)
	v_or_b32_e32 v0, v0, v1
	s_mov_b32 s3, 0
	s_mov_b32 s2, exec_lo
	v_cmpx_eq_u32_e32 0, v0
	s_cbranch_execz .LBB0_20
; %bb.19:
	s_load_b32 s2, s[0:1], 0x28
	s_mov_b32 s1, s3
	v_dual_mov_b32 v0, 0 :: v_dual_mov_b32 v1, s21
	v_mov_b32_e32 v2, s20
	global_store_b32 v0, v0, s[6:7]
	s_waitcnt lgkmcnt(0)
	s_add_i32 s0, s2, 1
	s_delay_alu instid0(SALU_CYCLE_1) | instskip(NEXT) | instid1(SALU_CYCLE_1)
	s_lshl_b64 s[0:1], s[0:1], 2
	s_add_u32 s0, s6, s0
	s_addc_u32 s1, s7, s1
	s_lshl_b64 s[4:5], s[2:3], 2
	s_delay_alu instid0(SALU_CYCLE_1) | instskip(SKIP_2) | instid1(SALU_CYCLE_1)
	s_add_u32 s4, s6, s4
	s_addc_u32 s5, s7, s5
	s_lshl_b32 s2, s2, 1
	s_lshl_b64 s[2:3], s[2:3], 2
	s_delay_alu instid0(SALU_CYCLE_1)
	s_add_u32 s2, s6, s2
	s_addc_u32 s3, s7, s3
	s_clause 0x2
	global_store_b32 v0, v0, s[0:1]
	global_store_b32 v0, v1, s[4:5]
	global_store_b32 v0, v2, s[2:3] offset:4
.LBB0_20:
	s_nop 0
	s_sendmsg sendmsg(MSG_DEALLOC_VGPRS)
	s_endpgm
.LBB0_21:
                                        ; implicit-def: $vgpr1_vgpr2
	s_branch .LBB0_3
	.section	.rodata,"a",@progbits
	.p2align	6, 0x0
	.amdhsa_kernel _Z17workloadDiagonalsIjEvPKT_jS2_jPj
		.amdhsa_group_segment_fixed_size 148
		.amdhsa_private_segment_fixed_size 0
		.amdhsa_kernarg_size 296
		.amdhsa_user_sgpr_count 15
		.amdhsa_user_sgpr_dispatch_ptr 0
		.amdhsa_user_sgpr_queue_ptr 0
		.amdhsa_user_sgpr_kernarg_segment_ptr 1
		.amdhsa_user_sgpr_dispatch_id 0
		.amdhsa_user_sgpr_private_segment_size 0
		.amdhsa_wavefront_size32 1
		.amdhsa_uses_dynamic_stack 0
		.amdhsa_enable_private_segment 0
		.amdhsa_system_sgpr_workgroup_id_x 1
		.amdhsa_system_sgpr_workgroup_id_y 0
		.amdhsa_system_sgpr_workgroup_id_z 0
		.amdhsa_system_sgpr_workgroup_info 0
		.amdhsa_system_vgpr_workitem_id 0
		.amdhsa_next_free_vgpr 25
		.amdhsa_next_free_sgpr 26
		.amdhsa_reserve_vcc 1
		.amdhsa_float_round_mode_32 0
		.amdhsa_float_round_mode_16_64 0
		.amdhsa_float_denorm_mode_32 3
		.amdhsa_float_denorm_mode_16_64 3
		.amdhsa_dx10_clamp 1
		.amdhsa_ieee_mode 1
		.amdhsa_fp16_overflow 0
		.amdhsa_workgroup_processor_mode 1
		.amdhsa_memory_ordered 1
		.amdhsa_forward_progress 0
		.amdhsa_shared_vgpr_count 0
		.amdhsa_exception_fp_ieee_invalid_op 0
		.amdhsa_exception_fp_denorm_src 0
		.amdhsa_exception_fp_ieee_div_zero 0
		.amdhsa_exception_fp_ieee_overflow 0
		.amdhsa_exception_fp_ieee_underflow 0
		.amdhsa_exception_fp_ieee_inexact 0
		.amdhsa_exception_int_div_zero 0
	.end_amdhsa_kernel
	.section	.text._Z17workloadDiagonalsIjEvPKT_jS2_jPj,"axG",@progbits,_Z17workloadDiagonalsIjEvPKT_jS2_jPj,comdat
.Lfunc_end0:
	.size	_Z17workloadDiagonalsIjEvPKT_jS2_jPj, .Lfunc_end0-_Z17workloadDiagonalsIjEvPKT_jS2_jPj
                                        ; -- End function
	.section	.AMDGPU.csdata,"",@progbits
; Kernel info:
; codeLenInByte = 1928
; NumSgprs: 28
; NumVgprs: 25
; ScratchSize: 0
; MemoryBound: 0
; FloatMode: 240
; IeeeMode: 1
; LDSByteSize: 148 bytes/workgroup (compile time only)
; SGPRBlocks: 3
; VGPRBlocks: 3
; NumSGPRsForWavesPerEU: 28
; NumVGPRsForWavesPerEU: 25
; Occupancy: 16
; WaveLimiterHint : 1
; COMPUTE_PGM_RSRC2:SCRATCH_EN: 0
; COMPUTE_PGM_RSRC2:USER_SGPR: 15
; COMPUTE_PGM_RSRC2:TRAP_HANDLER: 0
; COMPUTE_PGM_RSRC2:TGID_X_EN: 1
; COMPUTE_PGM_RSRC2:TGID_Y_EN: 0
; COMPUTE_PGM_RSRC2:TGID_Z_EN: 0
; COMPUTE_PGM_RSRC2:TIDIG_COMP_CNT: 0
	.section	.text._Z15mergeSinglePathIjLb0ELb0EEvPKT_jS2_jPKjPS0_j,"axG",@progbits,_Z15mergeSinglePathIjLb0ELb0EEvPKT_jS2_jPKjPS0_j,comdat
	.protected	_Z15mergeSinglePathIjLb0ELb0EEvPKT_jS2_jPKjPS0_j ; -- Begin function _Z15mergeSinglePathIjLb0ELb0EEvPKT_jS2_jPKjPS0_j
	.globl	_Z15mergeSinglePathIjLb0ELb0EEvPKT_jS2_jPKjPS0_j
	.p2align	8
	.type	_Z15mergeSinglePathIjLb0ELb0EEvPKT_jS2_jPKjPS0_j,@function
_Z15mergeSinglePathIjLb0ELb0EEvPKT_jS2_jPKjPS0_j: ; @_Z15mergeSinglePathIjLb0ELb0EEvPKT_jS2_jPKjPS0_j
; %bb.0:
	s_clause 0x2
	s_load_b64 s[10:11], s[0:1], 0x0
	s_load_b64 s[8:9], s[0:1], 0x10
	s_load_b128 s[4:7], s[0:1], 0x20
	v_alignbit_b32 v1, v0, v0, 5
	s_mov_b32 s2, s15
	s_mov_b32 s3, exec_lo
	s_delay_alu instid0(VALU_DEP_1)
	v_cmpx_lt_i32_e32 1, v1
	s_xor_b32 s3, exec_lo, s3
	s_cbranch_execz .LBB1_8
; %bb.1:
	s_mov_b32 s12, exec_lo
	v_cmpx_lt_i32_e32 2, v1
	s_xor_b32 s12, exec_lo, s12
	s_cbranch_execz .LBB1_5
; %bb.2:
	s_mov_b32 s13, exec_lo
	v_cmpx_eq_u32_e32 3, v1
	s_cbranch_execz .LBB1_4
; %bb.3:
	s_load_b32 s14, s[0:1], 0x38
	s_mov_b32 s15, 0
	v_mov_b32_e32 v5, 0
	s_waitcnt lgkmcnt(0)
	s_add_i32 s14, s2, s14
	s_delay_alu instid0(SALU_CYCLE_1) | instskip(NEXT) | instid1(SALU_CYCLE_1)
	s_add_i32 s14, s14, 2
	s_lshl_b64 s[14:15], s[14:15], 2
	s_delay_alu instid0(SALU_CYCLE_1) | instskip(SKIP_3) | instid1(SALU_CYCLE_1)
	s_add_u32 s14, s4, s14
	s_addc_u32 s15, s5, s15
	s_load_b32 s16, s[14:15], 0x0
	s_mov_b64 s[14:15], src_shared_base
	v_dual_mov_b32 v1, 0x101c :: v_dual_mov_b32 v2, s15
	s_waitcnt lgkmcnt(0)
	v_dual_mov_b32 v3, -1 :: v_dual_mov_b32 v4, s16
	flat_store_b32 v[1:2], v4 dlc
	s_waitcnt_vscnt null, 0x0
	ds_store_b32 v5, v3 offset:4108
.LBB1_4:
	s_or_b32 exec_lo, exec_lo, s13
.LBB1_5:
	s_and_not1_saveexec_b32 s12, s12
	s_cbranch_execz .LBB1_7
; %bb.6:
	s_load_b32 s13, s[0:1], 0x38
	s_mov_b32 s15, 0
	v_mov_b32_e32 v5, 0
	s_waitcnt lgkmcnt(0)
	s_add_i32 s13, s2, s13
	s_delay_alu instid0(SALU_CYCLE_1) | instskip(NEXT) | instid1(SALU_CYCLE_1)
	s_add_i32 s14, s13, 1
	s_lshl_b64 s[14:15], s[14:15], 2
	s_delay_alu instid0(SALU_CYCLE_1) | instskip(SKIP_3) | instid1(SALU_CYCLE_1)
	s_add_u32 s14, s4, s14
	s_addc_u32 s15, s5, s15
	s_load_b32 s13, s[14:15], 0x0
	s_mov_b64 s[14:15], src_shared_base
	v_dual_mov_b32 v1, 0x1014 :: v_dual_mov_b32 v2, s15
	s_waitcnt lgkmcnt(0)
	v_dual_mov_b32 v3, -1 :: v_dual_mov_b32 v4, s13
	flat_store_b32 v[1:2], v4 dlc
	s_waitcnt_vscnt null, 0x0
	ds_store_b32 v5, v3 offset:2052
.LBB1_7:
	s_or_b32 exec_lo, exec_lo, s12
                                        ; implicit-def: $vgpr1
.LBB1_8:
	s_and_not1_saveexec_b32 s14, s3
	s_cbranch_execz .LBB1_16
; %bb.9:
	s_mov_b32 s13, 0
	s_mov_b32 s3, exec_lo
	v_cmpx_lt_i32_e32 0, v1
	s_xor_b32 s3, exec_lo, s3
	s_cbranch_execz .LBB1_11
; %bb.10:
	s_add_i32 s12, s2, 1
	v_mov_b32_e32 v4, 0
	s_lshl_b64 s[12:13], s[12:13], 2
	s_waitcnt lgkmcnt(0)
	s_add_u32 s12, s4, s12
	s_addc_u32 s13, s5, s13
	s_load_b32 s15, s[12:13], 0x0
	s_mov_b64 s[12:13], src_shared_base
	s_delay_alu instid0(SALU_CYCLE_1)
	v_dual_mov_b32 v1, 0x1018 :: v_dual_mov_b32 v2, s13
	s_waitcnt lgkmcnt(0)
	v_mov_b32_e32 v3, s15
	flat_store_b32 v[1:2], v3 dlc
	s_waitcnt_vscnt null, 0x0
	ds_store_b32 v4, v4 offset:2056
                                        ; implicit-def: $vgpr1
.LBB1_11:
	s_and_not1_saveexec_b32 s12, s3
	s_cbranch_execz .LBB1_15
; %bb.12:
	s_mov_b32 s3, 0
	s_mov_b32 s13, exec_lo
	v_cmpx_eq_u32_e32 0, v1
	s_cbranch_execz .LBB1_14
; %bb.13:
	s_lshl_b64 s[2:3], s[2:3], 2
	v_mov_b32_e32 v4, 0
	s_waitcnt lgkmcnt(0)
	s_add_u32 s2, s4, s2
	s_addc_u32 s3, s5, s3
	s_load_b32 s4, s[2:3], 0x0
	s_mov_b64 s[2:3], src_shared_base
	s_delay_alu instid0(SALU_CYCLE_1)
	v_dual_mov_b32 v1, 0x1010 :: v_dual_mov_b32 v2, s3
	s_waitcnt lgkmcnt(0)
	v_mov_b32_e32 v3, s4
	flat_store_b32 v[1:2], v3 dlc
	s_waitcnt_vscnt null, 0x0
	ds_store_b32 v4, v4
.LBB1_14:
	s_or_b32 exec_lo, exec_lo, s13
.LBB1_15:
	s_delay_alu instid0(SALU_CYCLE_1)
	s_or_b32 exec_lo, exec_lo, s12
.LBB1_16:
	s_delay_alu instid0(SALU_CYCLE_1)
	s_or_b32 exec_lo, exec_lo, s14
	v_dual_mov_b32 v5, 0x1010 :: v_dual_lshlrev_b32 v14, 2, v0
	s_add_u32 s2, s0, 56
	s_addc_u32 s3, s1, 0
	s_waitcnt lgkmcnt(0)
	s_add_u32 s0, s10, -4
	v_add_nc_u32_e32 v16, 0x808, v14
	v_dual_mov_b32 v2, 0 :: v_dual_lshlrev_b32 v15, 1, v0
	s_addc_u32 s1, s11, -1
	s_add_u32 s8, s8, -4
	s_delay_alu instid0(VALU_DEP_2)
	v_mad_u32_u24 v1, v0, 12, v16
	v_add_co_u32 v20, s0, s0, v14
	s_addc_u32 s9, s9, -1
	s_mov_b64 s[4:5], src_shared_base
	v_add_co_ci_u32_e64 v21, null, s1, 0, s0
	v_add_co_u32 v22, s0, s8, v14
	v_cmp_eq_u32_e32 vcc_lo, 0x7f, v0
	v_or_b32_e32 v17, 2, v14
	v_or_b32_e32 v18, 1, v15
	v_dual_mov_b32 v4, s5 :: v_dual_add_nc_u32 v19, 8, v1
	v_add_co_ci_u32_e64 v23, null, s9, 0, s0
	v_dual_mov_b32 v7, 0x1018 :: v_dual_add_nc_u32 v24, 12, v1
	v_dual_mov_b32 v6, s5 :: v_dual_lshlrev_b32 v25, 2, v14
	v_dual_mov_b32 v8, s5 :: v_dual_mov_b32 v3, 0x1014
	v_mov_b32_e32 v9, 0x101c
	s_mov_b32 s1, 0
	s_movk_i32 s4, 0x1010
	s_movk_i32 s8, 0x1014
	s_barrier
	buffer_gl0_inv
	s_branch .LBB1_19
.LBB1_17:                               ;   in Loop: Header=BB1_19 Depth=1
	s_or_b32 exec_lo, exec_lo, s0
	s_delay_alu instid0(SALU_CYCLE_1)
	s_xor_b32 s0, exec_lo, -1
	s_waitcnt lgkmcnt(0)
	s_waitcnt_vscnt null, 0x0
	s_barrier
	buffer_gl0_inv
.LBB1_18:                               ;   in Loop: Header=BB1_19 Depth=1
	s_or_b32 exec_lo, exec_lo, s10
	s_delay_alu instid0(SALU_CYCLE_1) | instskip(NEXT) | instid1(SALU_CYCLE_1)
	s_and_b32 s0, exec_lo, s0
	s_or_b32 s1, s0, s1
	s_delay_alu instid0(SALU_CYCLE_1)
	s_and_not1_b32 exec_lo, exec_lo, s1
	s_cbranch_execz .LBB1_43
.LBB1_19:                               ; =>This Loop Header: Depth=1
                                        ;     Child Loop BB1_24 Depth 2
	flat_load_b32 v1, v[5:6] glc dlc
	s_waitcnt vmcnt(0)
	flat_load_b32 v10, v[7:8] glc dlc
	s_waitcnt vmcnt(0)
	s_mov_b32 s11, -1
	s_mov_b32 s9, exec_lo
	s_waitcnt lgkmcnt(0)
	v_cmpx_ge_u32_e64 v1, v10
	s_cbranch_execz .LBB1_21
; %bb.20:                               ;   in Loop: Header=BB1_19 Depth=1
	v_mov_b32_e32 v10, v4
	flat_load_b32 v1, v[3:4] glc dlc
	s_waitcnt vmcnt(0)
	flat_load_b32 v10, v[9:10] glc dlc
	s_waitcnt vmcnt(0) lgkmcnt(0)
	v_cmp_lt_u32_e64 s0, v1, v10
	s_delay_alu instid0(VALU_DEP_1)
	s_or_not1_b32 s11, s0, exec_lo
.LBB1_21:                               ;   in Loop: Header=BB1_19 Depth=1
	s_or_b32 exec_lo, exec_lo, s9
	s_mov_b32 s0, -1
	s_and_saveexec_b32 s10, s11
	s_cbranch_execz .LBB1_18
; %bb.22:                               ;   in Loop: Header=BB1_19 Depth=1
	s_mov_b32 s9, s5
	v_dual_mov_b32 v11, s5 :: v_dual_mov_b32 v10, s4
	v_dual_mov_b32 v13, s9 :: v_dual_mov_b32 v12, s8
                                        ; implicit-def: $sgpr12
	flat_load_b32 v1, v[10:11] glc dlc
	s_waitcnt vmcnt(0)
	flat_load_b32 v26, v[12:13] glc dlc
	s_waitcnt vmcnt(0)
	s_load_b32 s0, s[2:3], 0xc
	s_waitcnt lgkmcnt(0)
	s_and_b32 s9, s0, 0xffff
	s_delay_alu instid0(SALU_CYCLE_1) | instskip(SKIP_2) | instid1(VALU_DEP_2)
	s_lshl_b32 s11, s9, 2
	v_mov_b32_e32 v27, v2
	v_lshlrev_b64 v[28:29], 2, v[1:2]
	v_lshlrev_b64 v[26:27], 2, v[26:27]
	s_delay_alu instid0(VALU_DEP_2) | instskip(NEXT) | instid1(VALU_DEP_1)
	v_add_co_u32 v28, s0, v20, v28
	v_add_co_ci_u32_e64 v29, s0, v21, v29, s0
	s_delay_alu instid0(VALU_DEP_3) | instskip(NEXT) | instid1(VALU_DEP_1)
	v_add_co_u32 v26, s0, v22, v26
	v_add_co_ci_u32_e64 v27, s0, v23, v27, s0
	global_load_b32 v1, v[28:29], off offset:4
	v_add_co_u32 v28, s0, v28, s11
	s_delay_alu instid0(VALU_DEP_1) | instskip(SKIP_2) | instid1(VALU_DEP_1)
	v_add_co_ci_u32_e64 v29, s0, 0, v29, s0
	global_load_b32 v36, v[26:27], off offset:4
	v_add_co_u32 v26, s0, v26, s11
	v_add_co_ci_u32_e64 v27, s0, 0, v27, s0
	global_load_b32 v37, v[28:29], off offset:4
	v_add_co_u32 v28, s0, v28, s11
	s_delay_alu instid0(VALU_DEP_1) | instskip(SKIP_1) | instid1(VALU_DEP_1)
	v_add_co_ci_u32_e64 v29, s0, 0, v29, s0
	v_add_co_u32 v30, s0, v26, s11
	v_add_co_ci_u32_e64 v31, s0, 0, v27, s0
	s_delay_alu instid0(VALU_DEP_4) | instskip(NEXT) | instid1(VALU_DEP_1)
	v_add_co_u32 v32, s0, v28, s11
	v_add_co_ci_u32_e64 v33, s0, 0, v29, s0
	s_delay_alu instid0(VALU_DEP_4) | instskip(NEXT) | instid1(VALU_DEP_1)
	v_add_co_u32 v34, s0, v30, s11
	v_add_co_ci_u32_e64 v35, s0, 0, v31, s0
	global_load_b32 v26, v[26:27], off offset:4
	global_load_b32 v27, v[28:29], off offset:4
	;; [unrolled: 1-line block ×5, first 2 shown]
	v_add_nc_u32_e32 v32, s11, v14
	v_add_lshl_u32 v31, v0, s9, 2
	s_mov_b32 s9, 0
	s_delay_alu instid0(VALU_DEP_2) | instskip(NEXT) | instid1(VALU_DEP_2)
	v_add_nc_u32_e32 v34, s11, v32
	v_add3_u32 v33, 0x808, v31, s11
	s_delay_alu instid0(VALU_DEP_2) | instskip(NEXT) | instid1(VALU_DEP_2)
	v_add_nc_u32_e32 v38, s11, v34
	v_add_nc_u32_e32 v35, s11, v33
	s_mov_b32 s11, 0
	s_waitcnt vmcnt(7)
	ds_store_b32 v14, v1 offset:4
	s_waitcnt vmcnt(6)
	ds_store_b32 v16, v36 offset:4
	s_waitcnt vmcnt(5)
	ds_store_b32 v32, v37 offset:4
	s_waitcnt vmcnt(4)
	ds_store_b32 v31, v26 offset:2060
	s_waitcnt vmcnt(3)
	ds_store_b32 v34, v27 offset:4
	s_waitcnt vmcnt(2)
	ds_store_b32 v33, v28 offset:4
	s_waitcnt vmcnt(1)
	ds_store_b32 v38, v29 offset:4
	s_waitcnt vmcnt(0)
	ds_store_b32 v35, v30 offset:4
	v_mov_b32_e32 v26, v18
	flat_load_b32 v1, v[10:11] glc dlc
	s_waitcnt vmcnt(0)
	flat_load_b32 v10, v[12:13] glc dlc
	s_waitcnt vmcnt(0)
	v_mov_b32_e32 v13, v15
	s_waitcnt lgkmcnt(0)
	s_barrier
	buffer_gl0_inv
	s_set_inst_prefetch_distance 0x1
	s_branch .LBB1_24
	.p2align	6
.LBB1_23:                               ;   in Loop: Header=BB1_24 Depth=2
	s_or_b32 exec_lo, exec_lo, s12
	s_delay_alu instid0(SALU_CYCLE_1) | instskip(SKIP_2) | instid1(SALU_CYCLE_1)
	s_and_b32 s0, exec_lo, s11
	s_mov_b32 s11, 0
	s_or_b32 s9, s0, s9
                                        ; implicit-def: $sgpr12
	s_and_not1_b32 exec_lo, exec_lo, s9
	s_cbranch_execz .LBB1_29
.LBB1_24:                               ;   Parent Loop BB1_19 Depth=1
                                        ; =>  This Inner Loop Header: Depth=2
	v_mov_b32_e32 v11, v26
	v_add_nc_u32_e32 v13, 1, v13
	s_or_b32 s12, s12, exec_lo
	s_delay_alu instid0(VALU_DEP_2) | instskip(SKIP_1) | instid1(VALU_DEP_3)
	v_not_b32_e32 v27, v11
	v_lshlrev_b32_e32 v28, 2, v11
	v_lshrrev_b32_e32 v13, 1, v13
	s_delay_alu instid0(VALU_DEP_3) | instskip(SKIP_4) | instid1(VALU_DEP_1)
	v_lshl_add_u32 v26, v27, 2, v19
	ds_load_b32 v12, v28
	ds_load_b32 v26, v26
	s_waitcnt lgkmcnt(0)
	v_cmp_le_u32_e64 s0, v12, v26
                                        ; implicit-def: $vgpr26
	s_and_saveexec_b32 s13, s0
; %bb.25:                               ;   in Loop: Header=BB1_24 Depth=2
	v_add_nc_u32_e32 v26, v13, v11
	s_and_not1_b32 s12, s12, exec_lo
; %bb.26:                               ;   in Loop: Header=BB1_24 Depth=2
	s_or_b32 exec_lo, exec_lo, s13
	s_delay_alu instid0(SALU_CYCLE_1) | instskip(NEXT) | instid1(SALU_CYCLE_1)
	s_and_b32 s0, exec_lo, s12
	s_or_b32 s11, s0, s11
	s_delay_alu instid0(SALU_CYCLE_1)
	s_and_not1_b32 exec_lo, exec_lo, s11
	s_cbranch_execnz .LBB1_24
; %bb.27:                               ;   in Loop: Header=BB1_24 Depth=2
	s_or_b32 exec_lo, exec_lo, s11
	v_add_nc_u32_e32 v26, -4, v28
	v_lshl_add_u32 v27, v27, 2, v24
	s_mov_b32 s11, -1
	ds_load_b32 v26, v26
	ds_load_b32 v27, v27
	s_waitcnt lgkmcnt(0)
	v_cmp_gt_u32_e64 s0, v26, v27
                                        ; implicit-def: $vgpr26
	s_delay_alu instid0(VALU_DEP_1)
	s_and_saveexec_b32 s12, s0
	s_cbranch_execz .LBB1_23
; %bb.28:                               ;   in Loop: Header=BB1_24 Depth=2
	v_sub_nc_u32_e32 v26, v11, v13
	s_xor_b32 s11, exec_lo, -1
	s_branch .LBB1_23
.LBB1_29:                               ;   in Loop: Header=BB1_19 Depth=1
	s_set_inst_prefetch_distance 0x2
	s_or_b32 exec_lo, exec_lo, s9
	v_sub_nc_u32_e32 v13, v14, v11
	v_sub_nc_u32_e32 v26, v17, v11
                                        ; implicit-def: $vgpr27
	s_delay_alu instid0(VALU_DEP_2) | instskip(SKIP_3) | instid1(VALU_DEP_1)
	v_lshlrev_b32_e32 v30, 2, v13
                                        ; implicit-def: $vgpr13
	ds_load_b32 v29, v30 offset:2064
	s_waitcnt lgkmcnt(0)
	v_cmp_le_u32_e64 s0, v12, v29
	s_and_saveexec_b32 s9, s0
	s_delay_alu instid0(SALU_CYCLE_1)
	s_xor_b32 s0, exec_lo, s9
	s_cbranch_execz .LBB1_31
; %bb.30:                               ;   in Loop: Header=BB1_19 Depth=1
	ds_load_b32 v13, v28 offset:4
	v_add_nc_u32_e32 v27, 1, v11
                                        ; implicit-def: $vgpr30
.LBB1_31:                               ;   in Loop: Header=BB1_19 Depth=1
	s_or_saveexec_b32 s0, s0
	v_mov_b32_e32 v28, v29
	s_xor_b32 exec_lo, exec_lo, s0
	s_cbranch_execz .LBB1_33
; %bb.32:                               ;   in Loop: Header=BB1_19 Depth=1
	s_waitcnt lgkmcnt(0)
	v_add_nc_u32_e32 v13, 0x808, v30
	v_dual_mov_b32 v27, v11 :: v_dual_add_nc_u32 v26, 1, v26
	ds_load_b32 v28, v13 offset:12
	v_dual_mov_b32 v13, v12 :: v_dual_mov_b32 v12, v29
.LBB1_33:                               ;   in Loop: Header=BB1_19 Depth=1
	s_or_b32 exec_lo, exec_lo, s0
	v_mov_b32_e32 v11, v2
	v_lshlrev_b64 v[29:30], 2, v[1:2]
	s_delay_alu instid0(VALU_DEP_2) | instskip(NEXT) | instid1(VALU_DEP_2)
	v_lshlrev_b64 v[10:11], 2, v[10:11]
	v_add_co_u32 v1, s0, s6, v29
	s_delay_alu instid0(VALU_DEP_1) | instskip(NEXT) | instid1(VALU_DEP_2)
	v_add_co_ci_u32_e64 v29, s0, s7, v30, s0
	v_add_co_u32 v1, s0, v1, v10
	s_delay_alu instid0(VALU_DEP_1) | instskip(NEXT) | instid1(VALU_DEP_2)
	v_add_co_ci_u32_e64 v11, s0, v29, v11, s0
	v_add_co_u32 v10, s0, v1, v25
	s_delay_alu instid0(VALU_DEP_1) | instskip(SKIP_4) | instid1(SALU_CYCLE_1)
	v_add_co_ci_u32_e64 v11, s0, 0, v11, s0
	s_waitcnt lgkmcnt(0)
	v_cmp_le_u32_e64 s0, v13, v28
                                        ; implicit-def: $vgpr1
	global_store_b32 v[10:11], v12, off
                                        ; implicit-def: $vgpr12
	s_and_saveexec_b32 s9, s0
	s_xor_b32 s0, exec_lo, s9
	s_cbranch_execz .LBB1_35
; %bb.34:                               ;   in Loop: Header=BB1_19 Depth=1
	v_lshlrev_b32_e32 v1, 2, v27
	ds_load_b32 v12, v1 offset:4
	v_add_nc_u32_e32 v1, 1, v27
                                        ; implicit-def: $vgpr27
.LBB1_35:                               ;   in Loop: Header=BB1_19 Depth=1
	s_or_saveexec_b32 s0, s0
	v_mov_b32_e32 v29, v28
	s_xor_b32 exec_lo, exec_lo, s0
	s_cbranch_execz .LBB1_37
; %bb.36:                               ;   in Loop: Header=BB1_19 Depth=1
	s_waitcnt lgkmcnt(0)
	v_dual_mov_b32 v12, v13 :: v_dual_lshlrev_b32 v1, 2, v26
	v_dual_mov_b32 v13, v28 :: v_dual_add_nc_u32 v26, 1, v26
	ds_load_b32 v29, v1 offset:2060
	v_mov_b32_e32 v1, v27
.LBB1_37:                               ;   in Loop: Header=BB1_19 Depth=1
	s_or_b32 exec_lo, exec_lo, s0
	s_waitcnt lgkmcnt(0)
	v_cmp_le_u32_e64 s0, v12, v29
	global_store_b32 v[10:11], v13, off offset:4
                                        ; implicit-def: $vgpr13
                                        ; implicit-def: $vgpr27
	s_and_saveexec_b32 s9, s0
	s_delay_alu instid0(SALU_CYCLE_1)
	s_xor_b32 s0, exec_lo, s9
	s_cbranch_execz .LBB1_39
; %bb.38:                               ;   in Loop: Header=BB1_19 Depth=1
	v_lshlrev_b32_e32 v13, 2, v1
	v_add_nc_u32_e32 v27, 1, v1
                                        ; implicit-def: $vgpr1
	ds_load_b32 v13, v13 offset:4
.LBB1_39:                               ;   in Loop: Header=BB1_19 Depth=1
	s_or_saveexec_b32 s0, s0
	v_mov_b32_e32 v28, v29
	s_xor_b32 exec_lo, exec_lo, s0
	s_cbranch_execz .LBB1_41
; %bb.40:                               ;   in Loop: Header=BB1_19 Depth=1
	s_waitcnt lgkmcnt(0)
	v_lshlrev_b32_e32 v13, 2, v26
	v_dual_mov_b32 v27, v1 :: v_dual_add_nc_u32 v26, 1, v26
	ds_load_b32 v28, v13 offset:2060
	v_dual_mov_b32 v13, v12 :: v_dual_mov_b32 v12, v29
.LBB1_41:                               ;   in Loop: Header=BB1_19 Depth=1
	s_or_b32 exec_lo, exec_lo, s0
	s_waitcnt lgkmcnt(0)
	s_delay_alu instid0(VALU_DEP_1)
	v_min_u32_e32 v13, v13, v28
	global_store_b64 v[10:11], v[12:13], off offset:8
	s_and_saveexec_b32 s0, vcc_lo
	s_cbranch_execz .LBB1_17
; %bb.42:                               ;   in Loop: Header=BB1_19 Depth=1
	v_dual_mov_b32 v11, s5 :: v_dual_mov_b32 v10, s4
	s_mov_b32 s9, s5
	s_delay_alu instid0(SALU_CYCLE_1)
	v_dual_mov_b32 v13, s9 :: v_dual_mov_b32 v12, s8
	flat_load_b32 v1, v[10:11] glc dlc
	s_waitcnt vmcnt(0) lgkmcnt(0)
	v_add3_u32 v1, v27, v1, -1
	flat_store_b32 v[10:11], v1 dlc
	s_waitcnt_vscnt null, 0x0
	flat_load_b32 v1, v[12:13] glc dlc
	s_waitcnt vmcnt(0) lgkmcnt(0)
	v_add3_u32 v1, v26, v1, -1
	flat_store_b32 v[12:13], v1 dlc
	s_waitcnt_vscnt null, 0x0
	s_branch .LBB1_17
.LBB1_43:
	s_endpgm
	.section	.rodata,"a",@progbits
	.p2align	6, 0x0
	.amdhsa_kernel _Z15mergeSinglePathIjLb0ELb0EEvPKT_jS2_jPKjPS0_j
		.amdhsa_group_segment_fixed_size 4128
		.amdhsa_private_segment_fixed_size 0
		.amdhsa_kernarg_size 312
		.amdhsa_user_sgpr_count 15
		.amdhsa_user_sgpr_dispatch_ptr 0
		.amdhsa_user_sgpr_queue_ptr 0
		.amdhsa_user_sgpr_kernarg_segment_ptr 1
		.amdhsa_user_sgpr_dispatch_id 0
		.amdhsa_user_sgpr_private_segment_size 0
		.amdhsa_wavefront_size32 1
		.amdhsa_uses_dynamic_stack 0
		.amdhsa_enable_private_segment 0
		.amdhsa_system_sgpr_workgroup_id_x 1
		.amdhsa_system_sgpr_workgroup_id_y 0
		.amdhsa_system_sgpr_workgroup_id_z 0
		.amdhsa_system_sgpr_workgroup_info 0
		.amdhsa_system_vgpr_workitem_id 0
		.amdhsa_next_free_vgpr 39
		.amdhsa_next_free_sgpr 17
		.amdhsa_reserve_vcc 1
		.amdhsa_float_round_mode_32 0
		.amdhsa_float_round_mode_16_64 0
		.amdhsa_float_denorm_mode_32 3
		.amdhsa_float_denorm_mode_16_64 3
		.amdhsa_dx10_clamp 1
		.amdhsa_ieee_mode 1
		.amdhsa_fp16_overflow 0
		.amdhsa_workgroup_processor_mode 1
		.amdhsa_memory_ordered 1
		.amdhsa_forward_progress 0
		.amdhsa_shared_vgpr_count 0
		.amdhsa_exception_fp_ieee_invalid_op 0
		.amdhsa_exception_fp_denorm_src 0
		.amdhsa_exception_fp_ieee_div_zero 0
		.amdhsa_exception_fp_ieee_overflow 0
		.amdhsa_exception_fp_ieee_underflow 0
		.amdhsa_exception_fp_ieee_inexact 0
		.amdhsa_exception_int_div_zero 0
	.end_amdhsa_kernel
	.section	.text._Z15mergeSinglePathIjLb0ELb0EEvPKT_jS2_jPKjPS0_j,"axG",@progbits,_Z15mergeSinglePathIjLb0ELb0EEvPKT_jS2_jPKjPS0_j,comdat
.Lfunc_end1:
	.size	_Z15mergeSinglePathIjLb0ELb0EEvPKT_jS2_jPKjPS0_j, .Lfunc_end1-_Z15mergeSinglePathIjLb0ELb0EEvPKT_jS2_jPKjPS0_j
                                        ; -- End function
	.section	.AMDGPU.csdata,"",@progbits
; Kernel info:
; codeLenInByte = 2164
; NumSgprs: 19
; NumVgprs: 39
; ScratchSize: 0
; MemoryBound: 0
; FloatMode: 240
; IeeeMode: 1
; LDSByteSize: 4128 bytes/workgroup (compile time only)
; SGPRBlocks: 2
; VGPRBlocks: 4
; NumSGPRsForWavesPerEU: 19
; NumVGPRsForWavesPerEU: 39
; Occupancy: 16
; WaveLimiterHint : 1
; COMPUTE_PGM_RSRC2:SCRATCH_EN: 0
; COMPUTE_PGM_RSRC2:USER_SGPR: 15
; COMPUTE_PGM_RSRC2:TRAP_HANDLER: 0
; COMPUTE_PGM_RSRC2:TGID_X_EN: 1
; COMPUTE_PGM_RSRC2:TGID_Y_EN: 0
; COMPUTE_PGM_RSRC2:TGID_Z_EN: 0
; COMPUTE_PGM_RSRC2:TIDIG_COMP_CNT: 0
	.section	.text._Z17workloadDiagonalsIfEvPKT_jS2_jPj,"axG",@progbits,_Z17workloadDiagonalsIfEvPKT_jS2_jPj,comdat
	.protected	_Z17workloadDiagonalsIfEvPKT_jS2_jPj ; -- Begin function _Z17workloadDiagonalsIfEvPKT_jS2_jPj
	.globl	_Z17workloadDiagonalsIfEvPKT_jS2_jPj
	.p2align	8
	.type	_Z17workloadDiagonalsIfEvPKT_jS2_jPj,@function
_Z17workloadDiagonalsIfEvPKT_jS2_jPj:   ; @_Z17workloadDiagonalsIfEvPKT_jS2_jPj
; %bb.0:
	s_clause 0x4
	s_load_b64 s[4:5], s[0:1], 0x0
	s_load_b32 s21, s[0:1], 0x8
	s_load_b64 s[10:11], s[0:1], 0x10
	s_load_b32 s20, s[0:1], 0x18
	s_load_b64 s[6:7], s[0:1], 0x20
	v_cmp_ne_u32_e64 s2, 0, v0
	s_mov_b32 s8, s15
	s_mov_b32 s12, 0
	s_mov_b32 s3, exec_lo
	v_cmpx_eq_u32_e32 0, v0
	s_cbranch_execz .LBB2_5
; %bb.1:
	s_load_b32 s9, s[0:1], 0x28
	s_waitcnt lgkmcnt(0)
	s_add_u32 s14, s20, s21
	s_addc_u32 s13, 0, 0
	s_mul_hi_u32 s15, s14, s8
	s_mul_i32 s13, s13, s8
	s_delay_alu instid0(SALU_CYCLE_1) | instskip(NEXT) | instid1(SALU_CYCLE_1)
	s_add_i32 s13, s15, s13
	s_cmp_lg_u64 s[12:13], 0
	s_mul_i32 s12, s14, s8
	s_cbranch_scc0 .LBB2_21
; %bb.2:
	v_cvt_f32_u32_e32 v1, s9
	s_sub_u32 s16, 0, s9
	s_subb_u32 s17, 0, 0
	s_delay_alu instid0(VALU_DEP_1) | instskip(NEXT) | instid1(VALU_DEP_1)
	v_fmamk_f32 v1, 0, 0x4f800000, v1
	v_rcp_f32_e32 v1, v1
	s_waitcnt_depctr 0xfff
	v_mul_f32_e32 v1, 0x5f7ffffc, v1
	s_delay_alu instid0(VALU_DEP_1) | instskip(NEXT) | instid1(VALU_DEP_1)
	v_mul_f32_e32 v2, 0x2f800000, v1
	v_trunc_f32_e32 v2, v2
	s_delay_alu instid0(VALU_DEP_1) | instskip(SKIP_1) | instid1(VALU_DEP_2)
	v_fmamk_f32 v1, v2, 0xcf800000, v1
	v_cvt_u32_f32_e32 v2, v2
	v_cvt_u32_f32_e32 v1, v1
	s_delay_alu instid0(VALU_DEP_2) | instskip(NEXT) | instid1(VALU_DEP_2)
	v_readfirstlane_b32 s14, v2
	v_readfirstlane_b32 s15, v1
	s_delay_alu instid0(VALU_DEP_2) | instskip(NEXT) | instid1(VALU_DEP_1)
	s_mul_i32 s18, s16, s14
	s_mul_hi_u32 s22, s16, s15
	s_mul_i32 s19, s17, s15
	s_add_i32 s18, s22, s18
	s_mul_i32 s23, s16, s15
	s_add_i32 s18, s18, s19
	s_mul_hi_u32 s22, s15, s23
	s_mul_hi_u32 s24, s14, s23
	s_mul_i32 s19, s14, s23
	s_mul_hi_u32 s23, s15, s18
	s_mul_i32 s15, s15, s18
	s_mul_hi_u32 s25, s14, s18
	s_add_u32 s15, s22, s15
	s_addc_u32 s22, 0, s23
	s_add_u32 s15, s15, s19
	s_mul_i32 s18, s14, s18
	s_addc_u32 s15, s22, s24
	s_addc_u32 s19, s25, 0
	s_add_u32 s15, s15, s18
	s_addc_u32 s18, 0, s19
	v_add_co_u32 v1, s15, v1, s15
	s_delay_alu instid0(VALU_DEP_1) | instskip(SKIP_1) | instid1(VALU_DEP_1)
	s_cmp_lg_u32 s15, 0
	s_addc_u32 s14, s14, s18
	v_readfirstlane_b32 s15, v1
	s_mul_i32 s18, s16, s14
	s_delay_alu instid0(VALU_DEP_1)
	s_mul_hi_u32 s19, s16, s15
	s_mul_i32 s17, s17, s15
	s_add_i32 s18, s19, s18
	s_mul_i32 s16, s16, s15
	s_add_i32 s18, s18, s17
	s_mul_hi_u32 s19, s14, s16
	s_mul_i32 s22, s14, s16
	s_mul_hi_u32 s16, s15, s16
	s_mul_hi_u32 s23, s15, s18
	s_mul_i32 s15, s15, s18
	s_mul_hi_u32 s17, s14, s18
	s_add_u32 s15, s16, s15
	s_addc_u32 s16, 0, s23
	s_add_u32 s15, s15, s22
	s_mul_i32 s18, s14, s18
	s_addc_u32 s15, s16, s19
	s_addc_u32 s16, s17, 0
	s_add_u32 s15, s15, s18
	s_addc_u32 s16, 0, s16
	v_add_co_u32 v1, s15, v1, s15
	s_delay_alu instid0(VALU_DEP_1) | instskip(SKIP_1) | instid1(VALU_DEP_1)
	s_cmp_lg_u32 s15, 0
	s_addc_u32 s14, s14, s16
	v_readfirstlane_b32 s15, v1
	s_mul_i32 s17, s12, s14
	s_mul_hi_u32 s16, s12, s14
	s_mul_hi_u32 s18, s13, s14
	s_mul_i32 s14, s13, s14
	s_mul_hi_u32 s19, s12, s15
	s_mul_hi_u32 s22, s13, s15
	s_mul_i32 s15, s13, s15
	s_add_u32 s17, s19, s17
	s_addc_u32 s16, 0, s16
	s_add_u32 s15, s17, s15
	s_addc_u32 s15, s16, s22
	s_addc_u32 s16, s18, 0
	s_add_u32 s14, s15, s14
	s_addc_u32 s15, 0, s16
	s_mul_i32 s18, s9, s14
	s_mul_hi_u32 s17, s9, s14
	v_sub_co_u32 v1, s18, s12, s18
	s_mul_i32 s15, s9, s15
	s_add_u32 s16, s14, 1
	s_add_i32 s17, s17, s15
	s_delay_alu instid0(VALU_DEP_1) | instskip(SKIP_3) | instid1(VALU_DEP_2)
	v_sub_co_u32 v2, s15, v1, s9
	s_add_u32 s19, s14, 2
	s_cmp_lg_u32 s18, 0
	v_mov_b32_e32 v3, s19
	v_cmp_le_u32_e32 vcc_lo, s9, v2
	s_subb_u32 s13, s13, s17
	s_cmp_lg_u32 s15, 0
	s_subb_u32 s15, s13, 0
	v_cndmask_b32_e64 v2, 0, -1, vcc_lo
	v_cmp_le_u32_e32 vcc_lo, s9, v1
	s_cmp_eq_u32 s15, 0
	v_cndmask_b32_e64 v1, 0, -1, vcc_lo
	s_cselect_b32 vcc_lo, -1, 0
	s_cmp_eq_u32 s13, 0
	v_cndmask_b32_e32 v2, -1, v2, vcc_lo
	s_cselect_b32 vcc_lo, -1, 0
	v_cndmask_b32_e32 v1, -1, v1, vcc_lo
	s_delay_alu instid0(VALU_DEP_2) | instskip(SKIP_1) | instid1(VALU_DEP_3)
	v_cmp_ne_u32_e32 vcc_lo, 0, v2
	v_cndmask_b32_e32 v2, s16, v3, vcc_lo
	v_cmp_ne_u32_e32 vcc_lo, 0, v1
	s_delay_alu instid0(VALU_DEP_2)
	v_cndmask_b32_e32 v1, s14, v2, vcc_lo
	s_cbranch_execnz .LBB2_4
.LBB2_3:
	v_cvt_f32_u32_e32 v1, s9
	s_sub_i32 s14, 0, s9
	s_delay_alu instid0(VALU_DEP_1) | instskip(SKIP_2) | instid1(VALU_DEP_1)
	v_rcp_iflag_f32_e32 v1, v1
	s_waitcnt_depctr 0xfff
	v_mul_f32_e32 v1, 0x4f7ffffe, v1
	v_cvt_u32_f32_e32 v1, v1
	s_delay_alu instid0(VALU_DEP_1) | instskip(NEXT) | instid1(VALU_DEP_1)
	v_readfirstlane_b32 s13, v1
	s_mul_i32 s14, s14, s13
	s_delay_alu instid0(SALU_CYCLE_1) | instskip(NEXT) | instid1(SALU_CYCLE_1)
	s_mul_hi_u32 s14, s13, s14
	s_add_i32 s13, s13, s14
	s_delay_alu instid0(SALU_CYCLE_1) | instskip(NEXT) | instid1(SALU_CYCLE_1)
	s_mul_hi_u32 s13, s12, s13
	s_mul_i32 s14, s13, s9
	s_delay_alu instid0(SALU_CYCLE_1)
	s_sub_i32 s12, s12, s14
	s_add_i32 s14, s13, 1
	s_sub_i32 s15, s12, s9
	s_cmp_ge_u32 s12, s9
	s_cselect_b32 s14, s14, s13
	s_cselect_b32 s12, s15, s12
	s_add_i32 s15, s14, 1
	s_cmp_ge_u32 s12, s9
	s_mov_b32 s13, 0
	s_cselect_b32 s12, s15, s14
	s_delay_alu instid0(SALU_CYCLE_1)
	v_dual_mov_b32 v1, s12 :: v_dual_mov_b32 v2, s13
.LBB2_4:
	s_mov_b64 s[12:13], src_shared_base
	s_movk_i32 s12, 0x84
	s_delay_alu instid0(VALU_DEP_1)
	v_min_u32_e32 v6, s21, v1
	v_dual_mov_b32 v2, s12 :: v_dual_mov_b32 v3, s13
	s_movk_i32 s12, 0x88
	v_sub_nc_u32_e64 v1, v1, s21 clamp
	v_dual_mov_b32 v4, s12 :: v_dual_mov_b32 v5, s13
	flat_store_b32 v[2:3], v6 dlc
	s_waitcnt_vscnt null, 0x0
	flat_store_b32 v[4:5], v1 dlc
	s_waitcnt_vscnt null, 0x0
	flat_load_b32 v1, v[4:5] glc dlc
	s_waitcnt vmcnt(0)
	v_dual_mov_b32 v4, 0x8c :: v_dual_mov_b32 v5, s13
	s_waitcnt lgkmcnt(0)
	flat_store_b32 v[4:5], v1 dlc
	s_waitcnt_vscnt null, 0x0
	flat_load_b32 v1, v[2:3] glc dlc
	s_waitcnt vmcnt(0)
	v_mov_b32_e32 v4, 0x90
	s_waitcnt lgkmcnt(0)
	flat_store_b32 v[4:5], v1 dlc
	s_waitcnt_vscnt null, 0x0
	v_dual_mov_b32 v1, 0 :: v_dual_mov_b32 v4, 0x80
	flat_store_b32 v[4:5], v1 dlc
	s_waitcnt_vscnt null, 0x0
.LBB2_5:
	s_or_b32 exec_lo, exec_lo, s3
	s_mov_b64 s[12:13], src_shared_base
	s_delay_alu instid0(SALU_CYCLE_1)
	v_dual_mov_b32 v1, 0x80 :: v_dual_mov_b32 v2, s13
	s_waitcnt lgkmcnt(0)
	s_barrier
	buffer_gl0_inv
	s_mov_b32 s3, exec_lo
	flat_load_b32 v1, v[1:2] glc dlc
	s_waitcnt vmcnt(0) lgkmcnt(0)
	v_cmpx_ne_u32_e32 0, v1
	s_xor_b32 s3, exec_lo, s3
	s_delay_alu instid0(SALU_CYCLE_1)
	s_or_saveexec_b32 s22, s3
	v_mov_b32_e32 v1, s8
	s_xor_b32 exec_lo, exec_lo, s22
	s_cbranch_execz .LBB2_18
; %bb.6:
	s_mov_b32 s13, 0
	s_mov_b64 s[18:19], src_shared_base
	s_mov_b32 s9, s13
	s_movk_i32 s18, 0x84
	v_lshlrev_b32_e32 v15, 2, v0
	v_dual_mov_b32 v1, s18 :: v_dual_add_nc_u32 v16, -16, v0
	s_lshl_b64 s[14:15], s[8:9], 2
	v_mov_b32_e32 v2, s19
	s_movk_i32 s18, 0x88
	s_add_u32 s14, s6, s14
	s_addc_u32 s15, s7, s15
	v_dual_mov_b32 v5, s18 :: v_dual_mov_b32 v8, s19
	v_dual_mov_b32 v4, s19 :: v_dual_add_nc_u32 v17, -4, v15
	s_add_u32 s16, s0, 40
	v_cmp_eq_u32_e32 vcc_lo, 16, v0
	v_dual_mov_b32 v3, 0x8c :: v_dual_mov_b32 v6, s19
	v_dual_mov_b32 v7, 0x90 :: v_dual_mov_b32 v18, 1
	;; [unrolled: 1-line block ×4, first 2 shown]
	v_mov_b32_e32 v20, 0x88
	s_addc_u32 s17, s1, 0
	s_add_i32 s9, s8, 1
	s_add_u32 s18, s4, -4
	s_addc_u32 s23, s5, -1
	s_mov_b32 s5, 0
	s_branch .LBB2_8
.LBB2_7:                                ;   in Loop: Header=BB2_8 Depth=1
	s_or_b32 exec_lo, exec_lo, s4
	s_waitcnt lgkmcnt(0)
	s_barrier
	buffer_gl0_inv
	flat_load_b32 v9, v[11:12] glc dlc
	s_waitcnt vmcnt(0) lgkmcnt(0)
	v_cmp_ne_u32_e64 s3, 0, v9
	s_delay_alu instid0(VALU_DEP_1) | instskip(NEXT) | instid1(SALU_CYCLE_1)
	s_or_b32 s5, s3, s5
	s_and_not1_b32 exec_lo, exec_lo, s5
	s_cbranch_execz .LBB2_17
.LBB2_8:                                ; =>This Inner Loop Header: Depth=1
	flat_load_b32 v9, v[1:2] glc dlc
	s_waitcnt vmcnt(0)
	flat_load_b32 v13, v[1:2] glc dlc
	s_waitcnt vmcnt(0)
	;; [unrolled: 2-line block ×5, first 2 shown]
	flat_load_b32 v23, v[5:6] glc dlc
	s_waitcnt vmcnt(0) lgkmcnt(3)
	v_sub_nc_u32_e32 v13, v13, v14
	s_waitcnt lgkmcnt(0)
	v_sub_nc_u32_e32 v14, v22, v23
	s_delay_alu instid0(VALU_DEP_2) | instskip(NEXT) | instid1(VALU_DEP_1)
	v_ashrrev_i32_e32 v13, 1, v13
	v_add_nc_u32_e32 v13, v0, v13
	s_delay_alu instid0(VALU_DEP_1) | instskip(NEXT) | instid1(VALU_DEP_4)
	v_sub_nc_u32_e32 v9, v9, v13
	v_ashrrev_i32_e32 v13, 1, v14
	s_delay_alu instid0(VALU_DEP_2) | instskip(NEXT) | instid1(VALU_DEP_2)
	v_dual_mov_b32 v14, 0 :: v_dual_add_nc_u32 v9, 16, v9
	v_add3_u32 v13, v21, v16, v13
	s_delay_alu instid0(VALU_DEP_2) | instskip(NEXT) | instid1(VALU_DEP_2)
	v_cmp_gt_i32_e64 s3, s21, v9
	v_cmp_lt_i32_e64 s4, -1, v13
	s_delay_alu instid0(VALU_DEP_1) | instskip(NEXT) | instid1(SALU_CYCLE_1)
	s_and_b32 s3, s3, s4
	s_and_saveexec_b32 s12, s3
	s_cbranch_execz .LBB2_12
; %bb.9:                                ;   in Loop: Header=BB2_8 Depth=1
	v_cmp_gt_i32_e64 s3, s20, v13
	v_cmp_lt_i32_e64 s4, 0, v9
	v_mov_b32_e32 v14, 1
	s_delay_alu instid0(VALU_DEP_2) | instskip(NEXT) | instid1(SALU_CYCLE_1)
	s_and_b32 s3, s4, s3
	s_and_saveexec_b32 s4, s3
	s_cbranch_execz .LBB2_11
; %bb.10:                               ;   in Loop: Header=BB2_8 Depth=1
	v_mov_b32_e32 v14, v10
	v_lshlrev_b64 v[21:22], 2, v[9:10]
	s_delay_alu instid0(VALU_DEP_2) | instskip(NEXT) | instid1(VALU_DEP_2)
	v_lshlrev_b64 v[23:24], 2, v[13:14]
	v_add_co_u32 v21, s3, s18, v21
	s_delay_alu instid0(VALU_DEP_1) | instskip(NEXT) | instid1(VALU_DEP_3)
	v_add_co_ci_u32_e64 v22, s3, s23, v22, s3
	v_add_co_u32 v23, s3, s10, v23
	s_delay_alu instid0(VALU_DEP_1) | instskip(SKIP_4) | instid1(VALU_DEP_1)
	v_add_co_ci_u32_e64 v24, s3, s11, v24, s3
	global_load_b32 v14, v[21:22], off
	global_load_b32 v21, v[23:24], off
	s_waitcnt vmcnt(0)
	v_cmp_le_f32_e64 s3, v14, v21
	v_cndmask_b32_e64 v14, 0, 1, s3
.LBB2_11:                               ;   in Loop: Header=BB2_8 Depth=1
	s_or_b32 exec_lo, exec_lo, s4
.LBB2_12:                               ;   in Loop: Header=BB2_8 Depth=1
	s_delay_alu instid0(SALU_CYCLE_1)
	s_or_b32 exec_lo, exec_lo, s12
	ds_store_b32 v15, v14
	s_waitcnt lgkmcnt(0)
	s_barrier
	buffer_gl0_inv
	s_and_saveexec_b32 s4, s2
	s_cbranch_execz .LBB2_15
; %bb.13:                               ;   in Loop: Header=BB2_8 Depth=1
	ds_load_2addr_b32 v[21:22], v17 offset1:1
	s_waitcnt lgkmcnt(0)
	v_cmp_ne_u32_e64 s3, v22, v21
	s_delay_alu instid0(VALU_DEP_1)
	s_and_b32 exec_lo, exec_lo, s3
	s_cbranch_execz .LBB2_15
; %bb.14:                               ;   in Loop: Header=BB2_8 Depth=1
	flat_store_b32 v[11:12], v18 dlc
	s_waitcnt_vscnt null, 0x0
	s_load_b32 s3, s[16:17], 0x0
	s_waitcnt lgkmcnt(0)
	s_add_i32 s12, s9, s3
	s_delay_alu instid0(SALU_CYCLE_1) | instskip(NEXT) | instid1(SALU_CYCLE_1)
	s_lshl_b64 s[24:25], s[12:13], 2
	s_add_u32 s24, s6, s24
	s_addc_u32 s25, s7, s25
	s_clause 0x1
	global_store_b32 v10, v9, s[14:15]
	global_store_b32 v10, v13, s[24:25]
.LBB2_15:                               ;   in Loop: Header=BB2_8 Depth=1
	s_or_b32 exec_lo, exec_lo, s4
	s_waitcnt_vscnt null, 0x0
	s_barrier
	buffer_gl0_inv
	s_and_saveexec_b32 s4, vcc_lo
	s_cbranch_execz .LBB2_7
; %bb.16:                               ;   in Loop: Header=BB2_8 Depth=1
	ds_load_b32 v14, v10 offset:124
	v_mov_b32_e32 v22, s19
	v_mov_b32_e32 v24, s19
	s_waitcnt lgkmcnt(0)
	v_cmp_eq_u32_e64 s3, 0, v14
	s_delay_alu instid0(VALU_DEP_1)
	v_cndmask_b32_e64 v21, 0x8c, v19, s3
	v_cndmask_b32_e64 v23, 0x90, v20, s3
	flat_store_b32 v[21:22], v9 dlc
	s_waitcnt_vscnt null, 0x0
	flat_store_b32 v[23:24], v13 dlc
	s_waitcnt_vscnt null, 0x0
	s_branch .LBB2_7
.LBB2_17:
	s_or_b32 exec_lo, exec_lo, s5
	v_mov_b32_e32 v1, s8
.LBB2_18:
	s_or_b32 exec_lo, exec_lo, s22
	s_delay_alu instid0(VALU_DEP_1) | instskip(SKIP_2) | instid1(VALU_DEP_1)
	v_or_b32_e32 v0, v0, v1
	s_mov_b32 s3, 0
	s_mov_b32 s2, exec_lo
	v_cmpx_eq_u32_e32 0, v0
	s_cbranch_execz .LBB2_20
; %bb.19:
	s_load_b32 s2, s[0:1], 0x28
	s_mov_b32 s1, s3
	v_dual_mov_b32 v0, 0 :: v_dual_mov_b32 v1, s21
	v_mov_b32_e32 v2, s20
	global_store_b32 v0, v0, s[6:7]
	s_waitcnt lgkmcnt(0)
	s_add_i32 s0, s2, 1
	s_delay_alu instid0(SALU_CYCLE_1) | instskip(NEXT) | instid1(SALU_CYCLE_1)
	s_lshl_b64 s[0:1], s[0:1], 2
	s_add_u32 s0, s6, s0
	s_addc_u32 s1, s7, s1
	s_lshl_b64 s[4:5], s[2:3], 2
	s_delay_alu instid0(SALU_CYCLE_1) | instskip(SKIP_2) | instid1(SALU_CYCLE_1)
	s_add_u32 s4, s6, s4
	s_addc_u32 s5, s7, s5
	s_lshl_b32 s2, s2, 1
	s_lshl_b64 s[2:3], s[2:3], 2
	s_delay_alu instid0(SALU_CYCLE_1)
	s_add_u32 s2, s6, s2
	s_addc_u32 s3, s7, s3
	s_clause 0x2
	global_store_b32 v0, v0, s[0:1]
	global_store_b32 v0, v1, s[4:5]
	global_store_b32 v0, v2, s[2:3] offset:4
.LBB2_20:
	s_nop 0
	s_sendmsg sendmsg(MSG_DEALLOC_VGPRS)
	s_endpgm
.LBB2_21:
                                        ; implicit-def: $vgpr1_vgpr2
	s_branch .LBB2_3
	.section	.rodata,"a",@progbits
	.p2align	6, 0x0
	.amdhsa_kernel _Z17workloadDiagonalsIfEvPKT_jS2_jPj
		.amdhsa_group_segment_fixed_size 148
		.amdhsa_private_segment_fixed_size 0
		.amdhsa_kernarg_size 296
		.amdhsa_user_sgpr_count 15
		.amdhsa_user_sgpr_dispatch_ptr 0
		.amdhsa_user_sgpr_queue_ptr 0
		.amdhsa_user_sgpr_kernarg_segment_ptr 1
		.amdhsa_user_sgpr_dispatch_id 0
		.amdhsa_user_sgpr_private_segment_size 0
		.amdhsa_wavefront_size32 1
		.amdhsa_uses_dynamic_stack 0
		.amdhsa_enable_private_segment 0
		.amdhsa_system_sgpr_workgroup_id_x 1
		.amdhsa_system_sgpr_workgroup_id_y 0
		.amdhsa_system_sgpr_workgroup_id_z 0
		.amdhsa_system_sgpr_workgroup_info 0
		.amdhsa_system_vgpr_workitem_id 0
		.amdhsa_next_free_vgpr 25
		.amdhsa_next_free_sgpr 26
		.amdhsa_reserve_vcc 1
		.amdhsa_float_round_mode_32 0
		.amdhsa_float_round_mode_16_64 0
		.amdhsa_float_denorm_mode_32 3
		.amdhsa_float_denorm_mode_16_64 3
		.amdhsa_dx10_clamp 1
		.amdhsa_ieee_mode 1
		.amdhsa_fp16_overflow 0
		.amdhsa_workgroup_processor_mode 1
		.amdhsa_memory_ordered 1
		.amdhsa_forward_progress 0
		.amdhsa_shared_vgpr_count 0
		.amdhsa_exception_fp_ieee_invalid_op 0
		.amdhsa_exception_fp_denorm_src 0
		.amdhsa_exception_fp_ieee_div_zero 0
		.amdhsa_exception_fp_ieee_overflow 0
		.amdhsa_exception_fp_ieee_underflow 0
		.amdhsa_exception_fp_ieee_inexact 0
		.amdhsa_exception_int_div_zero 0
	.end_amdhsa_kernel
	.section	.text._Z17workloadDiagonalsIfEvPKT_jS2_jPj,"axG",@progbits,_Z17workloadDiagonalsIfEvPKT_jS2_jPj,comdat
.Lfunc_end2:
	.size	_Z17workloadDiagonalsIfEvPKT_jS2_jPj, .Lfunc_end2-_Z17workloadDiagonalsIfEvPKT_jS2_jPj
                                        ; -- End function
	.section	.AMDGPU.csdata,"",@progbits
; Kernel info:
; codeLenInByte = 1928
; NumSgprs: 28
; NumVgprs: 25
; ScratchSize: 0
; MemoryBound: 0
; FloatMode: 240
; IeeeMode: 1
; LDSByteSize: 148 bytes/workgroup (compile time only)
; SGPRBlocks: 3
; VGPRBlocks: 3
; NumSGPRsForWavesPerEU: 28
; NumVGPRsForWavesPerEU: 25
; Occupancy: 16
; WaveLimiterHint : 1
; COMPUTE_PGM_RSRC2:SCRATCH_EN: 0
; COMPUTE_PGM_RSRC2:USER_SGPR: 15
; COMPUTE_PGM_RSRC2:TRAP_HANDLER: 0
; COMPUTE_PGM_RSRC2:TGID_X_EN: 1
; COMPUTE_PGM_RSRC2:TGID_Y_EN: 0
; COMPUTE_PGM_RSRC2:TGID_Z_EN: 0
; COMPUTE_PGM_RSRC2:TIDIG_COMP_CNT: 0
	.section	.text._Z15mergeSinglePathIfLb0ELb0EEvPKT_jS2_jPKjPS0_j,"axG",@progbits,_Z15mergeSinglePathIfLb0ELb0EEvPKT_jS2_jPKjPS0_j,comdat
	.protected	_Z15mergeSinglePathIfLb0ELb0EEvPKT_jS2_jPKjPS0_j ; -- Begin function _Z15mergeSinglePathIfLb0ELb0EEvPKT_jS2_jPKjPS0_j
	.globl	_Z15mergeSinglePathIfLb0ELb0EEvPKT_jS2_jPKjPS0_j
	.p2align	8
	.type	_Z15mergeSinglePathIfLb0ELb0EEvPKT_jS2_jPKjPS0_j,@function
_Z15mergeSinglePathIfLb0ELb0EEvPKT_jS2_jPKjPS0_j: ; @_Z15mergeSinglePathIfLb0ELb0EEvPKT_jS2_jPKjPS0_j
; %bb.0:
	s_clause 0x2
	s_load_b64 s[10:11], s[0:1], 0x0
	s_load_b64 s[8:9], s[0:1], 0x10
	s_load_b128 s[4:7], s[0:1], 0x20
	v_alignbit_b32 v1, v0, v0, 5
	s_mov_b32 s2, s15
	s_mov_b32 s3, exec_lo
	s_delay_alu instid0(VALU_DEP_1)
	v_cmpx_lt_i32_e32 1, v1
	s_xor_b32 s3, exec_lo, s3
	s_cbranch_execz .LBB3_8
; %bb.1:
	s_mov_b32 s12, exec_lo
	v_cmpx_lt_i32_e32 2, v1
	s_xor_b32 s12, exec_lo, s12
	s_cbranch_execz .LBB3_5
; %bb.2:
	s_mov_b32 s13, exec_lo
	v_cmpx_eq_u32_e32 3, v1
	s_cbranch_execz .LBB3_4
; %bb.3:
	s_load_b32 s14, s[0:1], 0x38
	s_mov_b32 s15, 0
	v_mov_b32_e32 v5, 0
	s_waitcnt lgkmcnt(0)
	s_add_i32 s14, s2, s14
	s_delay_alu instid0(SALU_CYCLE_1) | instskip(NEXT) | instid1(SALU_CYCLE_1)
	s_add_i32 s14, s14, 2
	s_lshl_b64 s[14:15], s[14:15], 2
	s_delay_alu instid0(SALU_CYCLE_1) | instskip(SKIP_3) | instid1(SALU_CYCLE_1)
	s_add_u32 s14, s4, s14
	s_addc_u32 s15, s5, s15
	s_load_b32 s16, s[14:15], 0x0
	s_mov_b64 s[14:15], src_shared_base
	v_dual_mov_b32 v1, 0x101c :: v_dual_mov_b32 v2, s15
	s_waitcnt lgkmcnt(0)
	v_dual_mov_b32 v3, 0x7f7fffff :: v_dual_mov_b32 v4, s16
	flat_store_b32 v[1:2], v4 dlc
	s_waitcnt_vscnt null, 0x0
	ds_store_b32 v5, v3 offset:4108
.LBB3_4:
	s_or_b32 exec_lo, exec_lo, s13
.LBB3_5:
	s_and_not1_saveexec_b32 s12, s12
	s_cbranch_execz .LBB3_7
; %bb.6:
	s_load_b32 s13, s[0:1], 0x38
	s_mov_b32 s15, 0
	v_mov_b32_e32 v5, 0
	s_waitcnt lgkmcnt(0)
	s_add_i32 s13, s2, s13
	s_delay_alu instid0(SALU_CYCLE_1) | instskip(NEXT) | instid1(SALU_CYCLE_1)
	s_add_i32 s14, s13, 1
	s_lshl_b64 s[14:15], s[14:15], 2
	s_delay_alu instid0(SALU_CYCLE_1) | instskip(SKIP_3) | instid1(SALU_CYCLE_1)
	s_add_u32 s14, s4, s14
	s_addc_u32 s15, s5, s15
	s_load_b32 s13, s[14:15], 0x0
	s_mov_b64 s[14:15], src_shared_base
	v_dual_mov_b32 v1, 0x1014 :: v_dual_mov_b32 v2, s15
	s_waitcnt lgkmcnt(0)
	v_dual_mov_b32 v3, 0x7f7fffff :: v_dual_mov_b32 v4, s13
	flat_store_b32 v[1:2], v4 dlc
	s_waitcnt_vscnt null, 0x0
	ds_store_b32 v5, v3 offset:2052
.LBB3_7:
	s_or_b32 exec_lo, exec_lo, s12
                                        ; implicit-def: $vgpr1
.LBB3_8:
	s_and_not1_saveexec_b32 s14, s3
	s_cbranch_execz .LBB3_16
; %bb.9:
	s_mov_b32 s13, 0
	s_mov_b32 s3, exec_lo
	v_cmpx_lt_i32_e32 0, v1
	s_xor_b32 s3, exec_lo, s3
	s_cbranch_execz .LBB3_11
; %bb.10:
	s_add_i32 s12, s2, 1
	v_mov_b32_e32 v5, 0
	s_lshl_b64 s[12:13], s[12:13], 2
	s_waitcnt lgkmcnt(0)
	s_add_u32 s12, s4, s12
	s_addc_u32 s13, s5, s13
	s_load_b32 s15, s[12:13], 0x0
	s_mov_b64 s[12:13], src_shared_base
	s_delay_alu instid0(SALU_CYCLE_1)
	v_dual_mov_b32 v1, 0x1018 :: v_dual_mov_b32 v2, s13
	s_waitcnt lgkmcnt(0)
	v_dual_mov_b32 v3, 0x800000 :: v_dual_mov_b32 v4, s15
	flat_store_b32 v[1:2], v4 dlc
	s_waitcnt_vscnt null, 0x0
	ds_store_b32 v5, v3 offset:2056
                                        ; implicit-def: $vgpr1
.LBB3_11:
	s_and_not1_saveexec_b32 s12, s3
	s_cbranch_execz .LBB3_15
; %bb.12:
	s_mov_b32 s3, 0
	s_mov_b32 s13, exec_lo
	v_cmpx_eq_u32_e32 0, v1
	s_cbranch_execz .LBB3_14
; %bb.13:
	s_lshl_b64 s[2:3], s[2:3], 2
	v_mov_b32_e32 v5, 0
	s_waitcnt lgkmcnt(0)
	s_add_u32 s2, s4, s2
	s_addc_u32 s3, s5, s3
	s_load_b32 s4, s[2:3], 0x0
	s_mov_b64 s[2:3], src_shared_base
	s_delay_alu instid0(SALU_CYCLE_1)
	v_dual_mov_b32 v1, 0x1010 :: v_dual_mov_b32 v2, s3
	s_waitcnt lgkmcnt(0)
	v_dual_mov_b32 v3, 0x800000 :: v_dual_mov_b32 v4, s4
	flat_store_b32 v[1:2], v4 dlc
	s_waitcnt_vscnt null, 0x0
	ds_store_b32 v5, v3
.LBB3_14:
	s_or_b32 exec_lo, exec_lo, s13
.LBB3_15:
	s_delay_alu instid0(SALU_CYCLE_1)
	s_or_b32 exec_lo, exec_lo, s12
.LBB3_16:
	s_delay_alu instid0(SALU_CYCLE_1)
	s_or_b32 exec_lo, exec_lo, s14
	v_dual_mov_b32 v5, 0x1010 :: v_dual_lshlrev_b32 v14, 2, v0
	s_add_u32 s2, s0, 56
	s_addc_u32 s3, s1, 0
	s_waitcnt lgkmcnt(0)
	s_add_u32 s0, s10, -4
	v_add_nc_u32_e32 v16, 0x808, v14
	v_dual_mov_b32 v2, 0 :: v_dual_lshlrev_b32 v15, 1, v0
	s_addc_u32 s1, s11, -1
	s_add_u32 s8, s8, -4
	s_delay_alu instid0(VALU_DEP_2)
	v_mad_u32_u24 v1, v0, 12, v16
	v_add_co_u32 v20, s0, s0, v14
	s_addc_u32 s9, s9, -1
	s_mov_b64 s[4:5], src_shared_base
	v_add_co_ci_u32_e64 v21, null, s1, 0, s0
	v_add_co_u32 v22, s0, s8, v14
	v_cmp_eq_u32_e32 vcc_lo, 0x7f, v0
	v_or_b32_e32 v17, 2, v14
	v_or_b32_e32 v18, 1, v15
	v_dual_mov_b32 v4, s5 :: v_dual_add_nc_u32 v19, 8, v1
	v_add_co_ci_u32_e64 v23, null, s9, 0, s0
	v_dual_mov_b32 v7, 0x1018 :: v_dual_add_nc_u32 v24, 12, v1
	v_dual_mov_b32 v6, s5 :: v_dual_lshlrev_b32 v25, 2, v14
	v_dual_mov_b32 v8, s5 :: v_dual_mov_b32 v3, 0x1014
	v_mov_b32_e32 v9, 0x101c
	s_mov_b32 s1, 0
	s_movk_i32 s4, 0x1010
	s_movk_i32 s8, 0x1014
	s_barrier
	buffer_gl0_inv
	s_branch .LBB3_19
.LBB3_17:                               ;   in Loop: Header=BB3_19 Depth=1
	s_or_b32 exec_lo, exec_lo, s0
	s_delay_alu instid0(SALU_CYCLE_1)
	s_xor_b32 s0, exec_lo, -1
	s_waitcnt lgkmcnt(0)
	s_waitcnt_vscnt null, 0x0
	s_barrier
	buffer_gl0_inv
.LBB3_18:                               ;   in Loop: Header=BB3_19 Depth=1
	s_or_b32 exec_lo, exec_lo, s10
	s_delay_alu instid0(SALU_CYCLE_1) | instskip(NEXT) | instid1(SALU_CYCLE_1)
	s_and_b32 s0, exec_lo, s0
	s_or_b32 s1, s0, s1
	s_delay_alu instid0(SALU_CYCLE_1)
	s_and_not1_b32 exec_lo, exec_lo, s1
	s_cbranch_execz .LBB3_43
.LBB3_19:                               ; =>This Loop Header: Depth=1
                                        ;     Child Loop BB3_24 Depth 2
	flat_load_b32 v1, v[5:6] glc dlc
	s_waitcnt vmcnt(0)
	flat_load_b32 v10, v[7:8] glc dlc
	s_waitcnt vmcnt(0)
	s_mov_b32 s11, -1
	s_mov_b32 s9, exec_lo
	s_waitcnt lgkmcnt(0)
	v_cmpx_ge_u32_e64 v1, v10
	s_cbranch_execz .LBB3_21
; %bb.20:                               ;   in Loop: Header=BB3_19 Depth=1
	v_mov_b32_e32 v10, v4
	flat_load_b32 v1, v[3:4] glc dlc
	s_waitcnt vmcnt(0)
	flat_load_b32 v10, v[9:10] glc dlc
	s_waitcnt vmcnt(0) lgkmcnt(0)
	v_cmp_lt_u32_e64 s0, v1, v10
	s_delay_alu instid0(VALU_DEP_1)
	s_or_not1_b32 s11, s0, exec_lo
.LBB3_21:                               ;   in Loop: Header=BB3_19 Depth=1
	s_or_b32 exec_lo, exec_lo, s9
	s_mov_b32 s0, -1
	s_and_saveexec_b32 s10, s11
	s_cbranch_execz .LBB3_18
; %bb.22:                               ;   in Loop: Header=BB3_19 Depth=1
	s_mov_b32 s9, s5
	v_dual_mov_b32 v11, s5 :: v_dual_mov_b32 v10, s4
	v_dual_mov_b32 v13, s9 :: v_dual_mov_b32 v12, s8
                                        ; implicit-def: $sgpr12
	flat_load_b32 v1, v[10:11] glc dlc
	s_waitcnt vmcnt(0)
	flat_load_b32 v26, v[12:13] glc dlc
	s_waitcnt vmcnt(0)
	s_load_b32 s0, s[2:3], 0xc
	s_waitcnt lgkmcnt(0)
	s_and_b32 s9, s0, 0xffff
	s_delay_alu instid0(SALU_CYCLE_1) | instskip(SKIP_2) | instid1(VALU_DEP_2)
	s_lshl_b32 s11, s9, 2
	v_mov_b32_e32 v27, v2
	v_lshlrev_b64 v[28:29], 2, v[1:2]
	v_lshlrev_b64 v[26:27], 2, v[26:27]
	s_delay_alu instid0(VALU_DEP_2) | instskip(NEXT) | instid1(VALU_DEP_1)
	v_add_co_u32 v28, s0, v20, v28
	v_add_co_ci_u32_e64 v29, s0, v21, v29, s0
	s_delay_alu instid0(VALU_DEP_3) | instskip(NEXT) | instid1(VALU_DEP_1)
	v_add_co_u32 v26, s0, v22, v26
	v_add_co_ci_u32_e64 v27, s0, v23, v27, s0
	global_load_b32 v1, v[28:29], off offset:4
	v_add_co_u32 v28, s0, v28, s11
	s_delay_alu instid0(VALU_DEP_1) | instskip(SKIP_2) | instid1(VALU_DEP_1)
	v_add_co_ci_u32_e64 v29, s0, 0, v29, s0
	global_load_b32 v36, v[26:27], off offset:4
	v_add_co_u32 v26, s0, v26, s11
	v_add_co_ci_u32_e64 v27, s0, 0, v27, s0
	global_load_b32 v37, v[28:29], off offset:4
	v_add_co_u32 v28, s0, v28, s11
	s_delay_alu instid0(VALU_DEP_1) | instskip(SKIP_1) | instid1(VALU_DEP_1)
	v_add_co_ci_u32_e64 v29, s0, 0, v29, s0
	v_add_co_u32 v30, s0, v26, s11
	v_add_co_ci_u32_e64 v31, s0, 0, v27, s0
	s_delay_alu instid0(VALU_DEP_4) | instskip(NEXT) | instid1(VALU_DEP_1)
	v_add_co_u32 v32, s0, v28, s11
	v_add_co_ci_u32_e64 v33, s0, 0, v29, s0
	s_delay_alu instid0(VALU_DEP_4) | instskip(NEXT) | instid1(VALU_DEP_1)
	v_add_co_u32 v34, s0, v30, s11
	v_add_co_ci_u32_e64 v35, s0, 0, v31, s0
	global_load_b32 v26, v[26:27], off offset:4
	global_load_b32 v27, v[28:29], off offset:4
	;; [unrolled: 1-line block ×5, first 2 shown]
	v_add_nc_u32_e32 v32, s11, v14
	v_add_lshl_u32 v31, v0, s9, 2
	s_mov_b32 s9, 0
	s_delay_alu instid0(VALU_DEP_2) | instskip(NEXT) | instid1(VALU_DEP_2)
	v_add_nc_u32_e32 v34, s11, v32
	v_add3_u32 v33, 0x808, v31, s11
	s_delay_alu instid0(VALU_DEP_2) | instskip(NEXT) | instid1(VALU_DEP_2)
	v_add_nc_u32_e32 v38, s11, v34
	v_add_nc_u32_e32 v35, s11, v33
	s_mov_b32 s11, 0
	s_waitcnt vmcnt(7)
	ds_store_b32 v14, v1 offset:4
	s_waitcnt vmcnt(6)
	ds_store_b32 v16, v36 offset:4
	;; [unrolled: 2-line block ×8, first 2 shown]
	v_mov_b32_e32 v26, v18
	flat_load_b32 v1, v[10:11] glc dlc
	s_waitcnt vmcnt(0)
	flat_load_b32 v10, v[12:13] glc dlc
	s_waitcnt vmcnt(0)
	v_mov_b32_e32 v13, v15
	s_waitcnt lgkmcnt(0)
	s_barrier
	buffer_gl0_inv
	s_set_inst_prefetch_distance 0x1
	s_branch .LBB3_24
	.p2align	6
.LBB3_23:                               ;   in Loop: Header=BB3_24 Depth=2
	s_or_b32 exec_lo, exec_lo, s12
	s_delay_alu instid0(SALU_CYCLE_1) | instskip(SKIP_2) | instid1(SALU_CYCLE_1)
	s_and_b32 s0, exec_lo, s11
	s_mov_b32 s11, 0
	s_or_b32 s9, s0, s9
                                        ; implicit-def: $sgpr12
	s_and_not1_b32 exec_lo, exec_lo, s9
	s_cbranch_execz .LBB3_29
.LBB3_24:                               ;   Parent Loop BB3_19 Depth=1
                                        ; =>  This Inner Loop Header: Depth=2
	v_mov_b32_e32 v11, v26
	v_add_nc_u32_e32 v13, 1, v13
	s_or_b32 s12, s12, exec_lo
	s_delay_alu instid0(VALU_DEP_2) | instskip(SKIP_1) | instid1(VALU_DEP_3)
	v_not_b32_e32 v27, v11
	v_lshlrev_b32_e32 v28, 2, v11
	v_lshrrev_b32_e32 v13, 1, v13
	s_delay_alu instid0(VALU_DEP_3) | instskip(SKIP_4) | instid1(VALU_DEP_1)
	v_lshl_add_u32 v26, v27, 2, v19
	ds_load_b32 v12, v28
	ds_load_b32 v26, v26
	s_waitcnt lgkmcnt(0)
	v_cmp_ngt_f32_e64 s0, v12, v26
                                        ; implicit-def: $vgpr26
	s_and_saveexec_b32 s13, s0
; %bb.25:                               ;   in Loop: Header=BB3_24 Depth=2
	v_add_nc_u32_e32 v26, v13, v11
	s_and_not1_b32 s12, s12, exec_lo
; %bb.26:                               ;   in Loop: Header=BB3_24 Depth=2
	s_or_b32 exec_lo, exec_lo, s13
	s_delay_alu instid0(SALU_CYCLE_1) | instskip(NEXT) | instid1(SALU_CYCLE_1)
	s_and_b32 s0, exec_lo, s12
	s_or_b32 s11, s0, s11
	s_delay_alu instid0(SALU_CYCLE_1)
	s_and_not1_b32 exec_lo, exec_lo, s11
	s_cbranch_execnz .LBB3_24
; %bb.27:                               ;   in Loop: Header=BB3_24 Depth=2
	s_or_b32 exec_lo, exec_lo, s11
	v_add_nc_u32_e32 v26, -4, v28
	v_lshl_add_u32 v27, v27, 2, v24
	s_mov_b32 s11, -1
	ds_load_b32 v26, v26
	ds_load_b32 v27, v27
	s_waitcnt lgkmcnt(0)
	v_cmp_nle_f32_e64 s0, v26, v27
                                        ; implicit-def: $vgpr26
	s_delay_alu instid0(VALU_DEP_1)
	s_and_saveexec_b32 s12, s0
	s_cbranch_execz .LBB3_23
; %bb.28:                               ;   in Loop: Header=BB3_24 Depth=2
	v_sub_nc_u32_e32 v26, v11, v13
	s_xor_b32 s11, exec_lo, -1
	s_branch .LBB3_23
.LBB3_29:                               ;   in Loop: Header=BB3_19 Depth=1
	s_set_inst_prefetch_distance 0x2
	s_or_b32 exec_lo, exec_lo, s9
	v_sub_nc_u32_e32 v13, v14, v11
	v_sub_nc_u32_e32 v26, v17, v11
                                        ; implicit-def: $vgpr27
	s_delay_alu instid0(VALU_DEP_2) | instskip(SKIP_3) | instid1(VALU_DEP_1)
	v_lshlrev_b32_e32 v30, 2, v13
                                        ; implicit-def: $vgpr13
	ds_load_b32 v29, v30 offset:2064
	s_waitcnt lgkmcnt(0)
	v_cmp_ngt_f32_e64 s0, v12, v29
	s_and_saveexec_b32 s9, s0
	s_delay_alu instid0(SALU_CYCLE_1)
	s_xor_b32 s0, exec_lo, s9
	s_cbranch_execz .LBB3_31
; %bb.30:                               ;   in Loop: Header=BB3_19 Depth=1
	ds_load_b32 v13, v28 offset:4
	v_add_nc_u32_e32 v27, 1, v11
                                        ; implicit-def: $vgpr30
.LBB3_31:                               ;   in Loop: Header=BB3_19 Depth=1
	s_or_saveexec_b32 s0, s0
	v_mov_b32_e32 v28, v29
	s_xor_b32 exec_lo, exec_lo, s0
	s_cbranch_execz .LBB3_33
; %bb.32:                               ;   in Loop: Header=BB3_19 Depth=1
	s_waitcnt lgkmcnt(0)
	v_add_nc_u32_e32 v13, 0x808, v30
	v_dual_mov_b32 v27, v11 :: v_dual_add_nc_u32 v26, 1, v26
	ds_load_b32 v28, v13 offset:12
	v_dual_mov_b32 v13, v12 :: v_dual_mov_b32 v12, v29
.LBB3_33:                               ;   in Loop: Header=BB3_19 Depth=1
	s_or_b32 exec_lo, exec_lo, s0
	v_mov_b32_e32 v11, v2
	v_lshlrev_b64 v[29:30], 2, v[1:2]
	s_delay_alu instid0(VALU_DEP_2) | instskip(NEXT) | instid1(VALU_DEP_2)
	v_lshlrev_b64 v[10:11], 2, v[10:11]
	v_add_co_u32 v1, s0, s6, v29
	s_delay_alu instid0(VALU_DEP_1) | instskip(NEXT) | instid1(VALU_DEP_2)
	v_add_co_ci_u32_e64 v29, s0, s7, v30, s0
	v_add_co_u32 v1, s0, v1, v10
	s_delay_alu instid0(VALU_DEP_1) | instskip(NEXT) | instid1(VALU_DEP_2)
	v_add_co_ci_u32_e64 v11, s0, v29, v11, s0
	v_add_co_u32 v10, s0, v1, v25
	s_delay_alu instid0(VALU_DEP_1) | instskip(SKIP_4) | instid1(SALU_CYCLE_1)
	v_add_co_ci_u32_e64 v11, s0, 0, v11, s0
	s_waitcnt lgkmcnt(0)
	v_cmp_ngt_f32_e64 s0, v13, v28
                                        ; implicit-def: $vgpr1
	global_store_b32 v[10:11], v12, off
                                        ; implicit-def: $vgpr12
	s_and_saveexec_b32 s9, s0
	s_xor_b32 s0, exec_lo, s9
	s_cbranch_execz .LBB3_35
; %bb.34:                               ;   in Loop: Header=BB3_19 Depth=1
	v_lshlrev_b32_e32 v1, 2, v27
	ds_load_b32 v12, v1 offset:4
	v_add_nc_u32_e32 v1, 1, v27
                                        ; implicit-def: $vgpr27
.LBB3_35:                               ;   in Loop: Header=BB3_19 Depth=1
	s_or_saveexec_b32 s0, s0
	v_mov_b32_e32 v29, v28
	s_xor_b32 exec_lo, exec_lo, s0
	s_cbranch_execz .LBB3_37
; %bb.36:                               ;   in Loop: Header=BB3_19 Depth=1
	s_waitcnt lgkmcnt(0)
	v_dual_mov_b32 v12, v13 :: v_dual_lshlrev_b32 v1, 2, v26
	v_dual_mov_b32 v13, v28 :: v_dual_add_nc_u32 v26, 1, v26
	ds_load_b32 v29, v1 offset:2060
	v_mov_b32_e32 v1, v27
.LBB3_37:                               ;   in Loop: Header=BB3_19 Depth=1
	s_or_b32 exec_lo, exec_lo, s0
	s_waitcnt lgkmcnt(0)
	v_cmp_ngt_f32_e64 s0, v12, v29
	global_store_b32 v[10:11], v13, off offset:4
                                        ; implicit-def: $vgpr13
                                        ; implicit-def: $vgpr27
	s_and_saveexec_b32 s9, s0
	s_delay_alu instid0(SALU_CYCLE_1)
	s_xor_b32 s0, exec_lo, s9
	s_cbranch_execz .LBB3_39
; %bb.38:                               ;   in Loop: Header=BB3_19 Depth=1
	v_lshlrev_b32_e32 v13, 2, v1
	v_add_nc_u32_e32 v27, 1, v1
                                        ; implicit-def: $vgpr1
	ds_load_b32 v13, v13 offset:4
.LBB3_39:                               ;   in Loop: Header=BB3_19 Depth=1
	s_or_saveexec_b32 s0, s0
	v_mov_b32_e32 v28, v29
	s_xor_b32 exec_lo, exec_lo, s0
	s_cbranch_execz .LBB3_41
; %bb.40:                               ;   in Loop: Header=BB3_19 Depth=1
	s_waitcnt lgkmcnt(0)
	v_lshlrev_b32_e32 v13, 2, v26
	v_dual_mov_b32 v27, v1 :: v_dual_add_nc_u32 v26, 1, v26
	ds_load_b32 v28, v13 offset:2060
	v_dual_mov_b32 v13, v12 :: v_dual_mov_b32 v12, v29
.LBB3_41:                               ;   in Loop: Header=BB3_19 Depth=1
	s_or_b32 exec_lo, exec_lo, s0
	s_waitcnt lgkmcnt(0)
	s_delay_alu instid0(VALU_DEP_1) | instskip(NEXT) | instid1(VALU_DEP_1)
	v_cmp_gt_f32_e64 s0, v13, v28
	v_cndmask_b32_e64 v13, v13, v28, s0
	global_store_b64 v[10:11], v[12:13], off offset:8
	s_and_saveexec_b32 s0, vcc_lo
	s_cbranch_execz .LBB3_17
; %bb.42:                               ;   in Loop: Header=BB3_19 Depth=1
	v_dual_mov_b32 v11, s5 :: v_dual_mov_b32 v10, s4
	s_mov_b32 s9, s5
	s_delay_alu instid0(SALU_CYCLE_1)
	v_dual_mov_b32 v13, s9 :: v_dual_mov_b32 v12, s8
	flat_load_b32 v1, v[10:11] glc dlc
	s_waitcnt vmcnt(0) lgkmcnt(0)
	v_add3_u32 v1, v27, v1, -1
	flat_store_b32 v[10:11], v1 dlc
	s_waitcnt_vscnt null, 0x0
	flat_load_b32 v1, v[12:13] glc dlc
	s_waitcnt vmcnt(0) lgkmcnt(0)
	v_add3_u32 v1, v26, v1, -1
	flat_store_b32 v[12:13], v1 dlc
	s_waitcnt_vscnt null, 0x0
	s_branch .LBB3_17
.LBB3_43:
	s_endpgm
	.section	.rodata,"a",@progbits
	.p2align	6, 0x0
	.amdhsa_kernel _Z15mergeSinglePathIfLb0ELb0EEvPKT_jS2_jPKjPS0_j
		.amdhsa_group_segment_fixed_size 4128
		.amdhsa_private_segment_fixed_size 0
		.amdhsa_kernarg_size 312
		.amdhsa_user_sgpr_count 15
		.amdhsa_user_sgpr_dispatch_ptr 0
		.amdhsa_user_sgpr_queue_ptr 0
		.amdhsa_user_sgpr_kernarg_segment_ptr 1
		.amdhsa_user_sgpr_dispatch_id 0
		.amdhsa_user_sgpr_private_segment_size 0
		.amdhsa_wavefront_size32 1
		.amdhsa_uses_dynamic_stack 0
		.amdhsa_enable_private_segment 0
		.amdhsa_system_sgpr_workgroup_id_x 1
		.amdhsa_system_sgpr_workgroup_id_y 0
		.amdhsa_system_sgpr_workgroup_id_z 0
		.amdhsa_system_sgpr_workgroup_info 0
		.amdhsa_system_vgpr_workitem_id 0
		.amdhsa_next_free_vgpr 39
		.amdhsa_next_free_sgpr 17
		.amdhsa_reserve_vcc 1
		.amdhsa_float_round_mode_32 0
		.amdhsa_float_round_mode_16_64 0
		.amdhsa_float_denorm_mode_32 3
		.amdhsa_float_denorm_mode_16_64 3
		.amdhsa_dx10_clamp 1
		.amdhsa_ieee_mode 1
		.amdhsa_fp16_overflow 0
		.amdhsa_workgroup_processor_mode 1
		.amdhsa_memory_ordered 1
		.amdhsa_forward_progress 0
		.amdhsa_shared_vgpr_count 0
		.amdhsa_exception_fp_ieee_invalid_op 0
		.amdhsa_exception_fp_denorm_src 0
		.amdhsa_exception_fp_ieee_div_zero 0
		.amdhsa_exception_fp_ieee_overflow 0
		.amdhsa_exception_fp_ieee_underflow 0
		.amdhsa_exception_fp_ieee_inexact 0
		.amdhsa_exception_int_div_zero 0
	.end_amdhsa_kernel
	.section	.text._Z15mergeSinglePathIfLb0ELb0EEvPKT_jS2_jPKjPS0_j,"axG",@progbits,_Z15mergeSinglePathIfLb0ELb0EEvPKT_jS2_jPKjPS0_j,comdat
.Lfunc_end3:
	.size	_Z15mergeSinglePathIfLb0ELb0EEvPKT_jS2_jPKjPS0_j, .Lfunc_end3-_Z15mergeSinglePathIfLb0ELb0EEvPKT_jS2_jPKjPS0_j
                                        ; -- End function
	.section	.AMDGPU.csdata,"",@progbits
; Kernel info:
; codeLenInByte = 2200
; NumSgprs: 19
; NumVgprs: 39
; ScratchSize: 0
; MemoryBound: 0
; FloatMode: 240
; IeeeMode: 1
; LDSByteSize: 4128 bytes/workgroup (compile time only)
; SGPRBlocks: 2
; VGPRBlocks: 4
; NumSGPRsForWavesPerEU: 19
; NumVGPRsForWavesPerEU: 39
; Occupancy: 16
; WaveLimiterHint : 1
; COMPUTE_PGM_RSRC2:SCRATCH_EN: 0
; COMPUTE_PGM_RSRC2:USER_SGPR: 15
; COMPUTE_PGM_RSRC2:TRAP_HANDLER: 0
; COMPUTE_PGM_RSRC2:TGID_X_EN: 1
; COMPUTE_PGM_RSRC2:TGID_Y_EN: 0
; COMPUTE_PGM_RSRC2:TGID_Z_EN: 0
; COMPUTE_PGM_RSRC2:TIDIG_COMP_CNT: 0
	.section	.text._Z17workloadDiagonalsImEvPKT_jS2_jPj,"axG",@progbits,_Z17workloadDiagonalsImEvPKT_jS2_jPj,comdat
	.protected	_Z17workloadDiagonalsImEvPKT_jS2_jPj ; -- Begin function _Z17workloadDiagonalsImEvPKT_jS2_jPj
	.globl	_Z17workloadDiagonalsImEvPKT_jS2_jPj
	.p2align	8
	.type	_Z17workloadDiagonalsImEvPKT_jS2_jPj,@function
_Z17workloadDiagonalsImEvPKT_jS2_jPj:   ; @_Z17workloadDiagonalsImEvPKT_jS2_jPj
; %bb.0:
	s_clause 0x4
	s_load_b64 s[4:5], s[0:1], 0x0
	s_load_b32 s21, s[0:1], 0x8
	s_load_b64 s[10:11], s[0:1], 0x10
	s_load_b32 s20, s[0:1], 0x18
	s_load_b64 s[6:7], s[0:1], 0x20
	v_cmp_ne_u32_e64 s2, 0, v0
	s_mov_b32 s8, s15
	s_mov_b32 s12, 0
	s_mov_b32 s3, exec_lo
	v_cmpx_eq_u32_e32 0, v0
	s_cbranch_execz .LBB4_5
; %bb.1:
	s_load_b32 s9, s[0:1], 0x28
	s_waitcnt lgkmcnt(0)
	s_add_u32 s14, s20, s21
	s_addc_u32 s13, 0, 0
	s_mul_hi_u32 s15, s14, s8
	s_mul_i32 s13, s13, s8
	s_delay_alu instid0(SALU_CYCLE_1) | instskip(NEXT) | instid1(SALU_CYCLE_1)
	s_add_i32 s13, s15, s13
	s_cmp_lg_u64 s[12:13], 0
	s_mul_i32 s12, s14, s8
	s_cbranch_scc0 .LBB4_21
; %bb.2:
	v_cvt_f32_u32_e32 v1, s9
	s_sub_u32 s16, 0, s9
	s_subb_u32 s17, 0, 0
	s_delay_alu instid0(VALU_DEP_1) | instskip(NEXT) | instid1(VALU_DEP_1)
	v_fmamk_f32 v1, 0, 0x4f800000, v1
	v_rcp_f32_e32 v1, v1
	s_waitcnt_depctr 0xfff
	v_mul_f32_e32 v1, 0x5f7ffffc, v1
	s_delay_alu instid0(VALU_DEP_1) | instskip(NEXT) | instid1(VALU_DEP_1)
	v_mul_f32_e32 v2, 0x2f800000, v1
	v_trunc_f32_e32 v2, v2
	s_delay_alu instid0(VALU_DEP_1) | instskip(SKIP_1) | instid1(VALU_DEP_2)
	v_fmamk_f32 v1, v2, 0xcf800000, v1
	v_cvt_u32_f32_e32 v2, v2
	v_cvt_u32_f32_e32 v1, v1
	s_delay_alu instid0(VALU_DEP_2) | instskip(NEXT) | instid1(VALU_DEP_2)
	v_readfirstlane_b32 s14, v2
	v_readfirstlane_b32 s15, v1
	s_delay_alu instid0(VALU_DEP_2) | instskip(NEXT) | instid1(VALU_DEP_1)
	s_mul_i32 s18, s16, s14
	s_mul_hi_u32 s22, s16, s15
	s_mul_i32 s19, s17, s15
	s_add_i32 s18, s22, s18
	s_mul_i32 s23, s16, s15
	s_add_i32 s18, s18, s19
	s_mul_hi_u32 s22, s15, s23
	s_mul_hi_u32 s24, s14, s23
	s_mul_i32 s19, s14, s23
	s_mul_hi_u32 s23, s15, s18
	s_mul_i32 s15, s15, s18
	s_mul_hi_u32 s25, s14, s18
	s_add_u32 s15, s22, s15
	s_addc_u32 s22, 0, s23
	s_add_u32 s15, s15, s19
	s_mul_i32 s18, s14, s18
	s_addc_u32 s15, s22, s24
	s_addc_u32 s19, s25, 0
	s_add_u32 s15, s15, s18
	s_addc_u32 s18, 0, s19
	v_add_co_u32 v1, s15, v1, s15
	s_delay_alu instid0(VALU_DEP_1) | instskip(SKIP_1) | instid1(VALU_DEP_1)
	s_cmp_lg_u32 s15, 0
	s_addc_u32 s14, s14, s18
	v_readfirstlane_b32 s15, v1
	s_mul_i32 s18, s16, s14
	s_delay_alu instid0(VALU_DEP_1)
	s_mul_hi_u32 s19, s16, s15
	s_mul_i32 s17, s17, s15
	s_add_i32 s18, s19, s18
	s_mul_i32 s16, s16, s15
	s_add_i32 s18, s18, s17
	s_mul_hi_u32 s19, s14, s16
	s_mul_i32 s22, s14, s16
	s_mul_hi_u32 s16, s15, s16
	s_mul_hi_u32 s23, s15, s18
	s_mul_i32 s15, s15, s18
	s_mul_hi_u32 s17, s14, s18
	s_add_u32 s15, s16, s15
	s_addc_u32 s16, 0, s23
	s_add_u32 s15, s15, s22
	s_mul_i32 s18, s14, s18
	s_addc_u32 s15, s16, s19
	s_addc_u32 s16, s17, 0
	s_add_u32 s15, s15, s18
	s_addc_u32 s16, 0, s16
	v_add_co_u32 v1, s15, v1, s15
	s_delay_alu instid0(VALU_DEP_1) | instskip(SKIP_1) | instid1(VALU_DEP_1)
	s_cmp_lg_u32 s15, 0
	s_addc_u32 s14, s14, s16
	v_readfirstlane_b32 s15, v1
	s_mul_i32 s17, s12, s14
	s_mul_hi_u32 s16, s12, s14
	s_mul_hi_u32 s18, s13, s14
	s_mul_i32 s14, s13, s14
	s_mul_hi_u32 s19, s12, s15
	s_mul_hi_u32 s22, s13, s15
	s_mul_i32 s15, s13, s15
	s_add_u32 s17, s19, s17
	s_addc_u32 s16, 0, s16
	s_add_u32 s15, s17, s15
	s_addc_u32 s15, s16, s22
	s_addc_u32 s16, s18, 0
	s_add_u32 s14, s15, s14
	s_addc_u32 s15, 0, s16
	s_mul_i32 s18, s9, s14
	s_mul_hi_u32 s17, s9, s14
	v_sub_co_u32 v1, s18, s12, s18
	s_mul_i32 s15, s9, s15
	s_add_u32 s16, s14, 1
	s_add_i32 s17, s17, s15
	s_delay_alu instid0(VALU_DEP_1) | instskip(SKIP_3) | instid1(VALU_DEP_2)
	v_sub_co_u32 v2, s15, v1, s9
	s_add_u32 s19, s14, 2
	s_cmp_lg_u32 s18, 0
	v_mov_b32_e32 v3, s19
	v_cmp_le_u32_e32 vcc_lo, s9, v2
	s_subb_u32 s13, s13, s17
	s_cmp_lg_u32 s15, 0
	s_subb_u32 s15, s13, 0
	v_cndmask_b32_e64 v2, 0, -1, vcc_lo
	v_cmp_le_u32_e32 vcc_lo, s9, v1
	s_cmp_eq_u32 s15, 0
	v_cndmask_b32_e64 v1, 0, -1, vcc_lo
	s_cselect_b32 vcc_lo, -1, 0
	s_cmp_eq_u32 s13, 0
	v_cndmask_b32_e32 v2, -1, v2, vcc_lo
	s_cselect_b32 vcc_lo, -1, 0
	v_cndmask_b32_e32 v1, -1, v1, vcc_lo
	s_delay_alu instid0(VALU_DEP_2) | instskip(SKIP_1) | instid1(VALU_DEP_3)
	v_cmp_ne_u32_e32 vcc_lo, 0, v2
	v_cndmask_b32_e32 v2, s16, v3, vcc_lo
	v_cmp_ne_u32_e32 vcc_lo, 0, v1
	s_delay_alu instid0(VALU_DEP_2)
	v_cndmask_b32_e32 v1, s14, v2, vcc_lo
	s_cbranch_execnz .LBB4_4
.LBB4_3:
	v_cvt_f32_u32_e32 v1, s9
	s_sub_i32 s14, 0, s9
	s_delay_alu instid0(VALU_DEP_1) | instskip(SKIP_2) | instid1(VALU_DEP_1)
	v_rcp_iflag_f32_e32 v1, v1
	s_waitcnt_depctr 0xfff
	v_mul_f32_e32 v1, 0x4f7ffffe, v1
	v_cvt_u32_f32_e32 v1, v1
	s_delay_alu instid0(VALU_DEP_1) | instskip(NEXT) | instid1(VALU_DEP_1)
	v_readfirstlane_b32 s13, v1
	s_mul_i32 s14, s14, s13
	s_delay_alu instid0(SALU_CYCLE_1) | instskip(NEXT) | instid1(SALU_CYCLE_1)
	s_mul_hi_u32 s14, s13, s14
	s_add_i32 s13, s13, s14
	s_delay_alu instid0(SALU_CYCLE_1) | instskip(NEXT) | instid1(SALU_CYCLE_1)
	s_mul_hi_u32 s13, s12, s13
	s_mul_i32 s14, s13, s9
	s_delay_alu instid0(SALU_CYCLE_1)
	s_sub_i32 s12, s12, s14
	s_add_i32 s14, s13, 1
	s_sub_i32 s15, s12, s9
	s_cmp_ge_u32 s12, s9
	s_cselect_b32 s14, s14, s13
	s_cselect_b32 s12, s15, s12
	s_add_i32 s15, s14, 1
	s_cmp_ge_u32 s12, s9
	s_mov_b32 s13, 0
	s_cselect_b32 s12, s15, s14
	s_delay_alu instid0(SALU_CYCLE_1)
	v_dual_mov_b32 v1, s12 :: v_dual_mov_b32 v2, s13
.LBB4_4:
	s_mov_b64 s[12:13], src_shared_base
	s_movk_i32 s12, 0x84
	s_delay_alu instid0(VALU_DEP_1)
	v_min_u32_e32 v6, s21, v1
	v_dual_mov_b32 v2, s12 :: v_dual_mov_b32 v3, s13
	s_movk_i32 s12, 0x88
	v_sub_nc_u32_e64 v1, v1, s21 clamp
	v_dual_mov_b32 v4, s12 :: v_dual_mov_b32 v5, s13
	flat_store_b32 v[2:3], v6 dlc
	s_waitcnt_vscnt null, 0x0
	flat_store_b32 v[4:5], v1 dlc
	s_waitcnt_vscnt null, 0x0
	flat_load_b32 v1, v[4:5] glc dlc
	s_waitcnt vmcnt(0)
	v_dual_mov_b32 v4, 0x8c :: v_dual_mov_b32 v5, s13
	s_waitcnt lgkmcnt(0)
	flat_store_b32 v[4:5], v1 dlc
	s_waitcnt_vscnt null, 0x0
	flat_load_b32 v1, v[2:3] glc dlc
	s_waitcnt vmcnt(0)
	v_mov_b32_e32 v4, 0x90
	s_waitcnt lgkmcnt(0)
	flat_store_b32 v[4:5], v1 dlc
	s_waitcnt_vscnt null, 0x0
	v_dual_mov_b32 v1, 0 :: v_dual_mov_b32 v4, 0x80
	flat_store_b32 v[4:5], v1 dlc
	s_waitcnt_vscnt null, 0x0
.LBB4_5:
	s_or_b32 exec_lo, exec_lo, s3
	s_mov_b64 s[12:13], src_shared_base
	s_delay_alu instid0(SALU_CYCLE_1)
	v_dual_mov_b32 v1, 0x80 :: v_dual_mov_b32 v2, s13
	s_waitcnt lgkmcnt(0)
	s_barrier
	buffer_gl0_inv
	s_mov_b32 s3, exec_lo
	flat_load_b32 v1, v[1:2] glc dlc
	s_waitcnt vmcnt(0) lgkmcnt(0)
	v_cmpx_ne_u32_e32 0, v1
	s_xor_b32 s3, exec_lo, s3
	s_delay_alu instid0(SALU_CYCLE_1)
	s_or_saveexec_b32 s22, s3
	v_mov_b32_e32 v1, s8
	s_xor_b32 exec_lo, exec_lo, s22
	s_cbranch_execz .LBB4_18
; %bb.6:
	s_mov_b32 s13, 0
	s_mov_b64 s[18:19], src_shared_base
	s_mov_b32 s9, s13
	s_movk_i32 s18, 0x84
	v_lshlrev_b32_e32 v15, 2, v0
	v_dual_mov_b32 v1, s18 :: v_dual_add_nc_u32 v16, -16, v0
	s_lshl_b64 s[14:15], s[8:9], 2
	v_mov_b32_e32 v2, s19
	s_movk_i32 s18, 0x88
	s_add_u32 s14, s6, s14
	s_addc_u32 s15, s7, s15
	v_dual_mov_b32 v5, s18 :: v_dual_mov_b32 v8, s19
	v_dual_mov_b32 v4, s19 :: v_dual_add_nc_u32 v17, -4, v15
	s_add_u32 s16, s0, 40
	v_cmp_eq_u32_e32 vcc_lo, 16, v0
	v_dual_mov_b32 v3, 0x8c :: v_dual_mov_b32 v6, s19
	v_dual_mov_b32 v7, 0x90 :: v_dual_mov_b32 v18, 1
	;; [unrolled: 1-line block ×4, first 2 shown]
	v_mov_b32_e32 v20, 0x88
	s_addc_u32 s17, s1, 0
	s_add_i32 s9, s8, 1
	s_add_u32 s18, s4, -8
	s_addc_u32 s23, s5, -1
	s_mov_b32 s5, 0
	s_branch .LBB4_8
.LBB4_7:                                ;   in Loop: Header=BB4_8 Depth=1
	s_or_b32 exec_lo, exec_lo, s4
	s_waitcnt lgkmcnt(0)
	s_barrier
	buffer_gl0_inv
	flat_load_b32 v9, v[11:12] glc dlc
	s_waitcnt vmcnt(0) lgkmcnt(0)
	v_cmp_ne_u32_e64 s3, 0, v9
	s_delay_alu instid0(VALU_DEP_1) | instskip(NEXT) | instid1(SALU_CYCLE_1)
	s_or_b32 s5, s3, s5
	s_and_not1_b32 exec_lo, exec_lo, s5
	s_cbranch_execz .LBB4_17
.LBB4_8:                                ; =>This Inner Loop Header: Depth=1
	flat_load_b32 v9, v[1:2] glc dlc
	s_waitcnt vmcnt(0)
	flat_load_b32 v13, v[1:2] glc dlc
	s_waitcnt vmcnt(0)
	;; [unrolled: 2-line block ×5, first 2 shown]
	flat_load_b32 v23, v[5:6] glc dlc
	s_waitcnt vmcnt(0) lgkmcnt(3)
	v_sub_nc_u32_e32 v13, v13, v14
	s_waitcnt lgkmcnt(0)
	v_sub_nc_u32_e32 v14, v22, v23
	s_delay_alu instid0(VALU_DEP_2) | instskip(NEXT) | instid1(VALU_DEP_1)
	v_ashrrev_i32_e32 v13, 1, v13
	v_add_nc_u32_e32 v13, v0, v13
	s_delay_alu instid0(VALU_DEP_1) | instskip(NEXT) | instid1(VALU_DEP_4)
	v_sub_nc_u32_e32 v9, v9, v13
	v_ashrrev_i32_e32 v13, 1, v14
	s_delay_alu instid0(VALU_DEP_2) | instskip(NEXT) | instid1(VALU_DEP_2)
	v_dual_mov_b32 v14, 0 :: v_dual_add_nc_u32 v9, 16, v9
	v_add3_u32 v13, v21, v16, v13
	s_delay_alu instid0(VALU_DEP_2) | instskip(NEXT) | instid1(VALU_DEP_2)
	v_cmp_gt_i32_e64 s3, s21, v9
	v_cmp_lt_i32_e64 s4, -1, v13
	s_delay_alu instid0(VALU_DEP_1) | instskip(NEXT) | instid1(SALU_CYCLE_1)
	s_and_b32 s3, s3, s4
	s_and_saveexec_b32 s12, s3
	s_cbranch_execz .LBB4_12
; %bb.9:                                ;   in Loop: Header=BB4_8 Depth=1
	v_cmp_gt_i32_e64 s3, s20, v13
	v_cmp_lt_i32_e64 s4, 0, v9
	v_mov_b32_e32 v14, 1
	s_delay_alu instid0(VALU_DEP_2) | instskip(NEXT) | instid1(SALU_CYCLE_1)
	s_and_b32 s3, s4, s3
	s_and_saveexec_b32 s4, s3
	s_cbranch_execz .LBB4_11
; %bb.10:                               ;   in Loop: Header=BB4_8 Depth=1
	v_mov_b32_e32 v14, v10
	v_lshlrev_b64 v[21:22], 3, v[9:10]
	s_delay_alu instid0(VALU_DEP_2) | instskip(NEXT) | instid1(VALU_DEP_2)
	v_lshlrev_b64 v[23:24], 3, v[13:14]
	v_add_co_u32 v21, s3, s18, v21
	s_delay_alu instid0(VALU_DEP_1) | instskip(NEXT) | instid1(VALU_DEP_3)
	v_add_co_ci_u32_e64 v22, s3, s23, v22, s3
	v_add_co_u32 v23, s3, s10, v23
	s_delay_alu instid0(VALU_DEP_1) | instskip(SKIP_4) | instid1(VALU_DEP_1)
	v_add_co_ci_u32_e64 v24, s3, s11, v24, s3
	global_load_b64 v[21:22], v[21:22], off
	global_load_b64 v[23:24], v[23:24], off
	s_waitcnt vmcnt(0)
	v_cmp_le_u64_e64 s3, v[21:22], v[23:24]
	v_cndmask_b32_e64 v14, 0, 1, s3
.LBB4_11:                               ;   in Loop: Header=BB4_8 Depth=1
	s_or_b32 exec_lo, exec_lo, s4
.LBB4_12:                               ;   in Loop: Header=BB4_8 Depth=1
	s_delay_alu instid0(SALU_CYCLE_1)
	s_or_b32 exec_lo, exec_lo, s12
	ds_store_b32 v15, v14
	s_waitcnt lgkmcnt(0)
	s_barrier
	buffer_gl0_inv
	s_and_saveexec_b32 s4, s2
	s_cbranch_execz .LBB4_15
; %bb.13:                               ;   in Loop: Header=BB4_8 Depth=1
	ds_load_2addr_b32 v[21:22], v17 offset1:1
	s_waitcnt lgkmcnt(0)
	v_cmp_ne_u32_e64 s3, v22, v21
	s_delay_alu instid0(VALU_DEP_1)
	s_and_b32 exec_lo, exec_lo, s3
	s_cbranch_execz .LBB4_15
; %bb.14:                               ;   in Loop: Header=BB4_8 Depth=1
	flat_store_b32 v[11:12], v18 dlc
	s_waitcnt_vscnt null, 0x0
	s_load_b32 s3, s[16:17], 0x0
	s_waitcnt lgkmcnt(0)
	s_add_i32 s12, s9, s3
	s_delay_alu instid0(SALU_CYCLE_1) | instskip(NEXT) | instid1(SALU_CYCLE_1)
	s_lshl_b64 s[24:25], s[12:13], 2
	s_add_u32 s24, s6, s24
	s_addc_u32 s25, s7, s25
	s_clause 0x1
	global_store_b32 v10, v9, s[14:15]
	global_store_b32 v10, v13, s[24:25]
.LBB4_15:                               ;   in Loop: Header=BB4_8 Depth=1
	s_or_b32 exec_lo, exec_lo, s4
	s_waitcnt_vscnt null, 0x0
	s_barrier
	buffer_gl0_inv
	s_and_saveexec_b32 s4, vcc_lo
	s_cbranch_execz .LBB4_7
; %bb.16:                               ;   in Loop: Header=BB4_8 Depth=1
	ds_load_b32 v14, v10 offset:124
	v_mov_b32_e32 v22, s19
	v_mov_b32_e32 v24, s19
	s_waitcnt lgkmcnt(0)
	v_cmp_eq_u32_e64 s3, 0, v14
	s_delay_alu instid0(VALU_DEP_1)
	v_cndmask_b32_e64 v21, 0x8c, v19, s3
	v_cndmask_b32_e64 v23, 0x90, v20, s3
	flat_store_b32 v[21:22], v9 dlc
	s_waitcnt_vscnt null, 0x0
	flat_store_b32 v[23:24], v13 dlc
	s_waitcnt_vscnt null, 0x0
	s_branch .LBB4_7
.LBB4_17:
	s_or_b32 exec_lo, exec_lo, s5
	v_mov_b32_e32 v1, s8
.LBB4_18:
	s_or_b32 exec_lo, exec_lo, s22
	s_delay_alu instid0(VALU_DEP_1) | instskip(SKIP_2) | instid1(VALU_DEP_1)
	v_or_b32_e32 v0, v0, v1
	s_mov_b32 s3, 0
	s_mov_b32 s2, exec_lo
	v_cmpx_eq_u32_e32 0, v0
	s_cbranch_execz .LBB4_20
; %bb.19:
	s_load_b32 s2, s[0:1], 0x28
	s_mov_b32 s1, s3
	v_dual_mov_b32 v0, 0 :: v_dual_mov_b32 v1, s21
	v_mov_b32_e32 v2, s20
	global_store_b32 v0, v0, s[6:7]
	s_waitcnt lgkmcnt(0)
	s_add_i32 s0, s2, 1
	s_delay_alu instid0(SALU_CYCLE_1) | instskip(NEXT) | instid1(SALU_CYCLE_1)
	s_lshl_b64 s[0:1], s[0:1], 2
	s_add_u32 s0, s6, s0
	s_addc_u32 s1, s7, s1
	s_lshl_b64 s[4:5], s[2:3], 2
	s_delay_alu instid0(SALU_CYCLE_1) | instskip(SKIP_2) | instid1(SALU_CYCLE_1)
	s_add_u32 s4, s6, s4
	s_addc_u32 s5, s7, s5
	s_lshl_b32 s2, s2, 1
	s_lshl_b64 s[2:3], s[2:3], 2
	s_delay_alu instid0(SALU_CYCLE_1)
	s_add_u32 s2, s6, s2
	s_addc_u32 s3, s7, s3
	s_clause 0x2
	global_store_b32 v0, v0, s[0:1]
	global_store_b32 v0, v1, s[4:5]
	global_store_b32 v0, v2, s[2:3] offset:4
.LBB4_20:
	s_nop 0
	s_sendmsg sendmsg(MSG_DEALLOC_VGPRS)
	s_endpgm
.LBB4_21:
                                        ; implicit-def: $vgpr1_vgpr2
	s_branch .LBB4_3
	.section	.rodata,"a",@progbits
	.p2align	6, 0x0
	.amdhsa_kernel _Z17workloadDiagonalsImEvPKT_jS2_jPj
		.amdhsa_group_segment_fixed_size 148
		.amdhsa_private_segment_fixed_size 0
		.amdhsa_kernarg_size 296
		.amdhsa_user_sgpr_count 15
		.amdhsa_user_sgpr_dispatch_ptr 0
		.amdhsa_user_sgpr_queue_ptr 0
		.amdhsa_user_sgpr_kernarg_segment_ptr 1
		.amdhsa_user_sgpr_dispatch_id 0
		.amdhsa_user_sgpr_private_segment_size 0
		.amdhsa_wavefront_size32 1
		.amdhsa_uses_dynamic_stack 0
		.amdhsa_enable_private_segment 0
		.amdhsa_system_sgpr_workgroup_id_x 1
		.amdhsa_system_sgpr_workgroup_id_y 0
		.amdhsa_system_sgpr_workgroup_id_z 0
		.amdhsa_system_sgpr_workgroup_info 0
		.amdhsa_system_vgpr_workitem_id 0
		.amdhsa_next_free_vgpr 25
		.amdhsa_next_free_sgpr 26
		.amdhsa_reserve_vcc 1
		.amdhsa_float_round_mode_32 0
		.amdhsa_float_round_mode_16_64 0
		.amdhsa_float_denorm_mode_32 3
		.amdhsa_float_denorm_mode_16_64 3
		.amdhsa_dx10_clamp 1
		.amdhsa_ieee_mode 1
		.amdhsa_fp16_overflow 0
		.amdhsa_workgroup_processor_mode 1
		.amdhsa_memory_ordered 1
		.amdhsa_forward_progress 0
		.amdhsa_shared_vgpr_count 0
		.amdhsa_exception_fp_ieee_invalid_op 0
		.amdhsa_exception_fp_denorm_src 0
		.amdhsa_exception_fp_ieee_div_zero 0
		.amdhsa_exception_fp_ieee_overflow 0
		.amdhsa_exception_fp_ieee_underflow 0
		.amdhsa_exception_fp_ieee_inexact 0
		.amdhsa_exception_int_div_zero 0
	.end_amdhsa_kernel
	.section	.text._Z17workloadDiagonalsImEvPKT_jS2_jPj,"axG",@progbits,_Z17workloadDiagonalsImEvPKT_jS2_jPj,comdat
.Lfunc_end4:
	.size	_Z17workloadDiagonalsImEvPKT_jS2_jPj, .Lfunc_end4-_Z17workloadDiagonalsImEvPKT_jS2_jPj
                                        ; -- End function
	.section	.AMDGPU.csdata,"",@progbits
; Kernel info:
; codeLenInByte = 1928
; NumSgprs: 28
; NumVgprs: 25
; ScratchSize: 0
; MemoryBound: 0
; FloatMode: 240
; IeeeMode: 1
; LDSByteSize: 148 bytes/workgroup (compile time only)
; SGPRBlocks: 3
; VGPRBlocks: 3
; NumSGPRsForWavesPerEU: 28
; NumVGPRsForWavesPerEU: 25
; Occupancy: 16
; WaveLimiterHint : 1
; COMPUTE_PGM_RSRC2:SCRATCH_EN: 0
; COMPUTE_PGM_RSRC2:USER_SGPR: 15
; COMPUTE_PGM_RSRC2:TRAP_HANDLER: 0
; COMPUTE_PGM_RSRC2:TGID_X_EN: 1
; COMPUTE_PGM_RSRC2:TGID_Y_EN: 0
; COMPUTE_PGM_RSRC2:TGID_Z_EN: 0
; COMPUTE_PGM_RSRC2:TIDIG_COMP_CNT: 0
	.section	.text._Z15mergeSinglePathImLb0ELb0EEvPKT_jS2_jPKjPS0_j,"axG",@progbits,_Z15mergeSinglePathImLb0ELb0EEvPKT_jS2_jPKjPS0_j,comdat
	.protected	_Z15mergeSinglePathImLb0ELb0EEvPKT_jS2_jPKjPS0_j ; -- Begin function _Z15mergeSinglePathImLb0ELb0EEvPKT_jS2_jPKjPS0_j
	.globl	_Z15mergeSinglePathImLb0ELb0EEvPKT_jS2_jPKjPS0_j
	.p2align	8
	.type	_Z15mergeSinglePathImLb0ELb0EEvPKT_jS2_jPKjPS0_j,@function
_Z15mergeSinglePathImLb0ELb0EEvPKT_jS2_jPKjPS0_j: ; @_Z15mergeSinglePathImLb0ELb0EEvPKT_jS2_jPKjPS0_j
; %bb.0:
	s_clause 0x2
	s_load_b64 s[10:11], s[0:1], 0x0
	s_load_b64 s[8:9], s[0:1], 0x10
	s_load_b128 s[4:7], s[0:1], 0x20
	v_alignbit_b32 v1, v0, v0, 5
	s_mov_b32 s2, s15
	s_mov_b32 s3, exec_lo
	s_delay_alu instid0(VALU_DEP_1)
	v_cmpx_lt_i32_e32 1, v1
	s_xor_b32 s3, exec_lo, s3
	s_cbranch_execz .LBB5_8
; %bb.1:
	s_mov_b32 s12, exec_lo
	v_cmpx_lt_i32_e32 2, v1
	s_xor_b32 s12, exec_lo, s12
	s_cbranch_execz .LBB5_5
; %bb.2:
	s_mov_b32 s13, exec_lo
	v_cmpx_eq_u32_e32 3, v1
	s_cbranch_execz .LBB5_4
; %bb.3:
	s_load_b32 s14, s[0:1], 0x38
	s_mov_b32 s15, 0
	s_waitcnt lgkmcnt(0)
	s_add_i32 s14, s2, s14
	s_delay_alu instid0(SALU_CYCLE_1) | instskip(NEXT) | instid1(SALU_CYCLE_1)
	s_add_i32 s14, s14, 2
	s_lshl_b64 s[14:15], s[14:15], 2
	s_delay_alu instid0(SALU_CYCLE_1) | instskip(SKIP_3) | instid1(SALU_CYCLE_1)
	s_add_u32 s14, s4, s14
	s_addc_u32 s15, s5, s15
	s_load_b32 s16, s[14:15], 0x0
	s_mov_b64 s[14:15], src_shared_base
	v_dual_mov_b32 v1, -1 :: v_dual_mov_b32 v4, s15
	v_mov_b32_e32 v3, 0x202c
	s_delay_alu instid0(VALU_DEP_2)
	v_dual_mov_b32 v5, 0 :: v_dual_mov_b32 v2, v1
	s_waitcnt lgkmcnt(0)
	v_mov_b32_e32 v6, s16
	flat_store_b32 v[3:4], v6 dlc
	s_waitcnt_vscnt null, 0x0
	ds_store_b64 v5, v[1:2] offset:8216
.LBB5_4:
	s_or_b32 exec_lo, exec_lo, s13
.LBB5_5:
	s_and_not1_saveexec_b32 s12, s12
	s_cbranch_execz .LBB5_7
; %bb.6:
	s_load_b32 s13, s[0:1], 0x38
	s_mov_b32 s15, 0
	s_waitcnt lgkmcnt(0)
	s_add_i32 s13, s2, s13
	s_delay_alu instid0(SALU_CYCLE_1) | instskip(NEXT) | instid1(SALU_CYCLE_1)
	s_add_i32 s14, s13, 1
	s_lshl_b64 s[14:15], s[14:15], 2
	s_delay_alu instid0(SALU_CYCLE_1) | instskip(SKIP_3) | instid1(SALU_CYCLE_1)
	s_add_u32 s14, s4, s14
	s_addc_u32 s15, s5, s15
	s_load_b32 s13, s[14:15], 0x0
	s_mov_b64 s[14:15], src_shared_base
	v_dual_mov_b32 v1, -1 :: v_dual_mov_b32 v4, s15
	v_mov_b32_e32 v3, 0x2024
	s_delay_alu instid0(VALU_DEP_2)
	v_dual_mov_b32 v5, 0 :: v_dual_mov_b32 v2, v1
	s_waitcnt lgkmcnt(0)
	v_mov_b32_e32 v6, s13
	flat_store_b32 v[3:4], v6 dlc
	s_waitcnt_vscnt null, 0x0
	ds_store_b64 v5, v[1:2] offset:4104
.LBB5_7:
	s_or_b32 exec_lo, exec_lo, s12
                                        ; implicit-def: $vgpr1
.LBB5_8:
	s_and_not1_saveexec_b32 s14, s3
	s_cbranch_execz .LBB5_16
; %bb.9:
	s_mov_b32 s13, 0
	s_mov_b32 s3, exec_lo
	v_cmpx_lt_i32_e32 0, v1
	s_xor_b32 s3, exec_lo, s3
	s_cbranch_execz .LBB5_11
; %bb.10:
	s_add_i32 s12, s2, 1
	s_delay_alu instid0(SALU_CYCLE_1)
	s_lshl_b64 s[12:13], s[12:13], 2
	s_waitcnt lgkmcnt(0)
	s_add_u32 s12, s4, s12
	s_addc_u32 s13, s5, s13
	s_load_b32 s15, s[12:13], 0x0
	s_mov_b64 s[12:13], src_shared_base
	s_delay_alu instid0(SALU_CYCLE_1) | instskip(NEXT) | instid1(VALU_DEP_1)
	v_dual_mov_b32 v1, 0 :: v_dual_mov_b32 v4, s13
	v_dual_mov_b32 v3, 0x2028 :: v_dual_mov_b32 v2, v1
	s_waitcnt lgkmcnt(0)
	v_mov_b32_e32 v5, s15
	flat_store_b32 v[3:4], v5 dlc
	s_waitcnt_vscnt null, 0x0
	ds_store_b64 v1, v[1:2] offset:4112
                                        ; implicit-def: $vgpr1
.LBB5_11:
	s_and_not1_saveexec_b32 s12, s3
	s_cbranch_execz .LBB5_15
; %bb.12:
	s_mov_b32 s3, 0
	s_mov_b32 s13, exec_lo
	v_cmpx_eq_u32_e32 0, v1
	s_cbranch_execz .LBB5_14
; %bb.13:
	s_lshl_b64 s[2:3], s[2:3], 2
	s_waitcnt lgkmcnt(0)
	s_add_u32 s2, s4, s2
	s_addc_u32 s3, s5, s3
	s_load_b32 s4, s[2:3], 0x0
	s_mov_b64 s[2:3], src_shared_base
	s_delay_alu instid0(SALU_CYCLE_1) | instskip(NEXT) | instid1(VALU_DEP_1)
	v_dual_mov_b32 v1, 0 :: v_dual_mov_b32 v4, s3
	v_dual_mov_b32 v3, 0x2020 :: v_dual_mov_b32 v2, v1
	s_waitcnt lgkmcnt(0)
	v_mov_b32_e32 v5, s4
	flat_store_b32 v[3:4], v5 dlc
	s_waitcnt_vscnt null, 0x0
	ds_store_b64 v1, v[1:2]
.LBB5_14:
	s_or_b32 exec_lo, exec_lo, s13
.LBB5_15:
	s_delay_alu instid0(SALU_CYCLE_1)
	s_or_b32 exec_lo, exec_lo, s12
.LBB5_16:
	s_delay_alu instid0(SALU_CYCLE_1)
	s_or_b32 exec_lo, exec_lo, s14
	v_dual_mov_b32 v8, 0x2020 :: v_dual_lshlrev_b32 v21, 3, v0
	s_waitcnt lgkmcnt(0)
	s_mov_b64 s[4:5], src_shared_base
	s_add_u32 s2, s0, 56
	s_addc_u32 s3, s1, 0
	v_dual_mov_b32 v7, s5 :: v_dual_add_nc_u32 v24, 0x1010, v21
	s_add_u32 s0, s10, -8
	v_dual_mov_b32 v5, 0 :: v_dual_lshlrev_b32 v22, 1, v0
	v_dual_mov_b32 v10, 0x2028 :: v_dual_lshlrev_b32 v23, 2, v0
	s_delay_alu instid0(VALU_DEP_3)
	v_mad_u32_u24 v1, v0, 24, v24
	s_addc_u32 s1, s11, -1
	s_add_u32 s8, s8, -8
	v_add_co_u32 v28, s0, s0, v21
	s_addc_u32 s9, s9, -1
	v_add_co_ci_u32_e64 v29, null, s1, 0, s0
	v_add_co_u32 v30, s0, s8, v21
	v_cmp_eq_u32_e32 vcc_lo, 0x7f, v0
	v_or_b32_e32 v25, 2, v23
	v_or_b32_e32 v26, 1, v22
	v_dual_mov_b32 v6, 0x2024 :: v_dual_add_nc_u32 v27, 16, v1
	v_add_co_ci_u32_e64 v31, null, s9, 0, s0
	v_dual_mov_b32 v9, s5 :: v_dual_add_nc_u32 v32, 24, v1
	v_dual_mov_b32 v11, s5 :: v_dual_mov_b32 v12, 0x202c
	v_lshlrev_b32_e32 v33, 3, v23
	s_mov_b32 s1, 0
	s_movk_i32 s4, 0x2020
	s_movk_i32 s8, 0x2024
	s_barrier
	buffer_gl0_inv
	s_branch .LBB5_19
.LBB5_17:                               ;   in Loop: Header=BB5_19 Depth=1
	s_or_b32 exec_lo, exec_lo, s0
	s_delay_alu instid0(SALU_CYCLE_1)
	s_xor_b32 s0, exec_lo, -1
	s_waitcnt lgkmcnt(0)
	s_waitcnt_vscnt null, 0x0
	s_barrier
	buffer_gl0_inv
.LBB5_18:                               ;   in Loop: Header=BB5_19 Depth=1
	s_or_b32 exec_lo, exec_lo, s10
	s_delay_alu instid0(SALU_CYCLE_1) | instskip(NEXT) | instid1(SALU_CYCLE_1)
	s_and_b32 s0, exec_lo, s0
	s_or_b32 s1, s0, s1
	s_delay_alu instid0(SALU_CYCLE_1)
	s_and_not1_b32 exec_lo, exec_lo, s1
	s_cbranch_execz .LBB5_43
.LBB5_19:                               ; =>This Loop Header: Depth=1
                                        ;     Child Loop BB5_24 Depth 2
	flat_load_b32 v1, v[8:9] glc dlc
	s_waitcnt vmcnt(0)
	flat_load_b32 v2, v[10:11] glc dlc
	s_waitcnt vmcnt(0)
	s_mov_b32 s11, -1
	s_mov_b32 s9, exec_lo
	s_waitcnt lgkmcnt(0)
	v_cmpx_ge_u32_e64 v1, v2
	s_cbranch_execz .LBB5_21
; %bb.20:                               ;   in Loop: Header=BB5_19 Depth=1
	v_mov_b32_e32 v13, v7
	flat_load_b32 v1, v[6:7] glc dlc
	s_waitcnt vmcnt(0)
	flat_load_b32 v2, v[12:13] glc dlc
	s_waitcnt vmcnt(0) lgkmcnt(0)
	v_cmp_lt_u32_e64 s0, v1, v2
	s_delay_alu instid0(VALU_DEP_1)
	s_or_not1_b32 s11, s0, exec_lo
.LBB5_21:                               ;   in Loop: Header=BB5_19 Depth=1
	s_or_b32 exec_lo, exec_lo, s9
	s_mov_b32 s0, -1
	s_and_saveexec_b32 s10, s11
	s_cbranch_execz .LBB5_18
; %bb.22:                               ;   in Loop: Header=BB5_19 Depth=1
	s_mov_b32 s9, s5
	v_dual_mov_b32 v1, s4 :: v_dual_mov_b32 v2, s5
	v_dual_mov_b32 v14, s9 :: v_dual_mov_b32 v13, s8
                                        ; implicit-def: $sgpr12
	flat_load_b32 v4, v[1:2] glc dlc
	s_waitcnt vmcnt(0)
	flat_load_b32 v15, v[13:14] glc dlc
	s_waitcnt vmcnt(0)
	s_load_b32 s0, s[2:3], 0xc
	s_waitcnt lgkmcnt(0)
	s_and_b32 s9, s0, 0xffff
	s_delay_alu instid0(SALU_CYCLE_1) | instskip(NEXT) | instid1(SALU_CYCLE_1)
	s_lshl_b32 s11, s9, 3
	v_dual_mov_b32 v16, v5 :: v_dual_add_nc_u32 v43, s11, v21
	v_add_lshl_u32 v42, v0, s9, 3
	s_mov_b32 s9, 0
	s_delay_alu instid0(VALU_DEP_2) | instskip(NEXT) | instid1(VALU_DEP_2)
	v_add_nc_u32_e32 v45, s11, v43
	v_add3_u32 v44, 0x1010, v42, s11
	s_delay_alu instid0(VALU_DEP_2) | instskip(NEXT) | instid1(VALU_DEP_2)
	v_add_nc_u32_e32 v47, s11, v45
	v_add_nc_u32_e32 v46, s11, v44
	v_lshlrev_b64 v[3:4], 3, v[4:5]
	v_lshlrev_b64 v[15:16], 3, v[15:16]
	s_delay_alu instid0(VALU_DEP_2) | instskip(NEXT) | instid1(VALU_DEP_1)
	v_add_co_u32 v3, s0, v28, v3
	v_add_co_ci_u32_e64 v4, s0, v29, v4, s0
	s_delay_alu instid0(VALU_DEP_3) | instskip(NEXT) | instid1(VALU_DEP_1)
	v_add_co_u32 v15, s0, v30, v15
	v_add_co_ci_u32_e64 v16, s0, v31, v16, s0
	global_load_b64 v[17:18], v[3:4], off offset:8
	v_add_co_u32 v3, s0, v3, s11
	s_delay_alu instid0(VALU_DEP_1) | instskip(SKIP_2) | instid1(VALU_DEP_1)
	v_add_co_ci_u32_e64 v4, s0, 0, v4, s0
	global_load_b64 v[19:20], v[15:16], off offset:8
	v_add_co_u32 v15, s0, v15, s11
	v_add_co_ci_u32_e64 v16, s0, 0, v16, s0
	global_load_b64 v[34:35], v[3:4], off offset:8
	v_add_co_u32 v3, s0, v3, s11
	s_delay_alu instid0(VALU_DEP_1) | instskip(SKIP_1) | instid1(VALU_DEP_1)
	v_add_co_ci_u32_e64 v4, s0, 0, v4, s0
	v_add_co_u32 v36, s0, v15, s11
	v_add_co_ci_u32_e64 v37, s0, 0, v16, s0
	s_delay_alu instid0(VALU_DEP_4) | instskip(NEXT) | instid1(VALU_DEP_1)
	v_add_co_u32 v38, s0, v3, s11
	v_add_co_ci_u32_e64 v39, s0, 0, v4, s0
	s_delay_alu instid0(VALU_DEP_4) | instskip(NEXT) | instid1(VALU_DEP_1)
	v_add_co_u32 v40, s0, v36, s11
	v_add_co_ci_u32_e64 v41, s0, 0, v37, s0
	global_load_b64 v[15:16], v[15:16], off offset:8
	global_load_b64 v[3:4], v[3:4], off offset:8
	;; [unrolled: 1-line block ×5, first 2 shown]
	s_mov_b32 s11, 0
	s_waitcnt vmcnt(7)
	ds_store_b64 v21, v[17:18] offset:8
	s_waitcnt vmcnt(6)
	ds_store_b64 v24, v[19:20] offset:8
	;; [unrolled: 2-line block ×8, first 2 shown]
	v_mov_b32_e32 v3, v26
	flat_load_b32 v4, v[1:2] glc dlc
	s_waitcnt vmcnt(0)
	flat_load_b32 v1, v[13:14] glc dlc
	s_waitcnt vmcnt(0)
	v_mov_b32_e32 v2, v22
	s_waitcnt lgkmcnt(0)
	s_barrier
	buffer_gl0_inv
	s_set_inst_prefetch_distance 0x1
	s_branch .LBB5_24
	.p2align	6
.LBB5_23:                               ;   in Loop: Header=BB5_24 Depth=2
	s_or_b32 exec_lo, exec_lo, s12
	s_delay_alu instid0(SALU_CYCLE_1) | instskip(SKIP_2) | instid1(SALU_CYCLE_1)
	s_and_b32 s0, exec_lo, s11
	s_mov_b32 s11, 0
	s_or_b32 s9, s0, s9
                                        ; implicit-def: $sgpr12
	s_and_not1_b32 exec_lo, exec_lo, s9
	s_cbranch_execz .LBB5_29
.LBB5_24:                               ;   Parent Loop BB5_19 Depth=1
                                        ; =>  This Inner Loop Header: Depth=2
	v_dual_mov_b32 v15, v3 :: v_dual_add_nc_u32 v2, 1, v2
	s_or_b32 s12, s12, exec_lo
	s_mov_b32 s13, exec_lo
	s_delay_alu instid0(VALU_DEP_1) | instskip(SKIP_2) | instid1(VALU_DEP_3)
	v_not_b32_e32 v17, v15
	v_lshlrev_b32_e32 v16, 3, v15
	v_lshrrev_b32_e32 v2, 1, v2
	v_lshl_add_u32 v3, v17, 3, v27
	ds_load_b64 v[13:14], v16
	ds_load_b64 v[18:19], v3
                                        ; implicit-def: $vgpr3
	s_waitcnt lgkmcnt(0)
	v_cmpx_le_u64_e64 v[13:14], v[18:19]
; %bb.25:                               ;   in Loop: Header=BB5_24 Depth=2
	v_add_nc_u32_e32 v3, v2, v15
	s_and_not1_b32 s12, s12, exec_lo
; %bb.26:                               ;   in Loop: Header=BB5_24 Depth=2
	s_or_b32 exec_lo, exec_lo, s13
	s_delay_alu instid0(SALU_CYCLE_1) | instskip(NEXT) | instid1(SALU_CYCLE_1)
	s_and_b32 s0, exec_lo, s12
	s_or_b32 s11, s0, s11
	s_delay_alu instid0(SALU_CYCLE_1)
	s_and_not1_b32 exec_lo, exec_lo, s11
	s_cbranch_execnz .LBB5_24
; %bb.27:                               ;   in Loop: Header=BB5_24 Depth=2
	s_or_b32 exec_lo, exec_lo, s11
	v_add_nc_u32_e32 v3, -8, v16
	v_lshl_add_u32 v19, v17, 3, v32
	s_mov_b32 s11, -1
	s_mov_b32 s12, exec_lo
	ds_load_b64 v[17:18], v3
	ds_load_b64 v[19:20], v19
                                        ; implicit-def: $vgpr3
	s_waitcnt lgkmcnt(0)
	v_cmpx_gt_u64_e64 v[17:18], v[19:20]
	s_cbranch_execz .LBB5_23
; %bb.28:                               ;   in Loop: Header=BB5_24 Depth=2
	v_sub_nc_u32_e32 v3, v15, v2
	s_xor_b32 s11, exec_lo, -1
	s_branch .LBB5_23
.LBB5_29:                               ;   in Loop: Header=BB5_19 Depth=1
	s_set_inst_prefetch_distance 0x2
	s_or_b32 exec_lo, exec_lo, s9
	v_sub_nc_u32_e32 v2, v23, v15
	v_sub_nc_u32_e32 v34, v25, v15
                                        ; implicit-def: $vgpr17_vgpr18
                                        ; implicit-def: $vgpr35
	s_delay_alu instid0(VALU_DEP_2) | instskip(SKIP_3) | instid1(VALU_DEP_1)
	v_lshlrev_b32_e32 v36, 3, v2
	ds_load_b64 v[2:3], v36 offset:4128
	s_waitcnt lgkmcnt(0)
	v_cmp_le_u64_e64 s0, v[13:14], v[2:3]
	s_and_saveexec_b32 s9, s0
	s_delay_alu instid0(SALU_CYCLE_1)
	s_xor_b32 s0, exec_lo, s9
	s_cbranch_execz .LBB5_31
; %bb.30:                               ;   in Loop: Header=BB5_19 Depth=1
	ds_load_b64 v[17:18], v16 offset:8
	v_add_nc_u32_e32 v35, 1, v15
                                        ; implicit-def: $vgpr36
.LBB5_31:                               ;   in Loop: Header=BB5_19 Depth=1
	s_or_saveexec_b32 s0, s0
	v_dual_mov_b32 v20, v3 :: v_dual_mov_b32 v19, v2
	s_xor_b32 exec_lo, exec_lo, s0
	s_cbranch_execz .LBB5_33
; %bb.32:                               ;   in Loop: Header=BB5_19 Depth=1
	v_dual_mov_b32 v35, v15 :: v_dual_add_nc_u32 v16, 0x1010, v36
	s_waitcnt lgkmcnt(0)
	v_mov_b32_e32 v18, v14
	v_dual_mov_b32 v17, v13 :: v_dual_add_nc_u32 v34, 1, v34
	ds_load_b64 v[19:20], v16 offset:24
	v_dual_mov_b32 v14, v3 :: v_dual_mov_b32 v13, v2
.LBB5_33:                               ;   in Loop: Header=BB5_19 Depth=1
	s_or_b32 exec_lo, exec_lo, s0
	v_mov_b32_e32 v2, v5
	v_lshlrev_b64 v[3:4], 3, v[4:5]
                                        ; implicit-def: $vgpr36
	s_delay_alu instid0(VALU_DEP_2) | instskip(NEXT) | instid1(VALU_DEP_2)
	v_lshlrev_b64 v[1:2], 3, v[1:2]
	v_add_co_u32 v3, s0, s6, v3
	s_delay_alu instid0(VALU_DEP_1) | instskip(NEXT) | instid1(VALU_DEP_2)
	v_add_co_ci_u32_e64 v4, s0, s7, v4, s0
	v_add_co_u32 v1, s0, v3, v1
	s_delay_alu instid0(VALU_DEP_1) | instskip(NEXT) | instid1(VALU_DEP_2)
	v_add_co_ci_u32_e64 v2, s0, v4, v2, s0
	v_add_co_u32 v15, s0, v1, v33
	s_delay_alu instid0(VALU_DEP_1) | instskip(SKIP_4) | instid1(SALU_CYCLE_1)
	v_add_co_ci_u32_e64 v16, s0, 0, v2, s0
	s_waitcnt lgkmcnt(0)
	v_cmp_le_u64_e64 s0, v[17:18], v[19:20]
                                        ; implicit-def: $vgpr1_vgpr2
	global_store_b64 v[15:16], v[13:14], off
	s_and_saveexec_b32 s9, s0
	s_xor_b32 s0, exec_lo, s9
	s_cbranch_execz .LBB5_35
; %bb.34:                               ;   in Loop: Header=BB5_19 Depth=1
	v_lshlrev_b32_e32 v1, 3, v35
	v_add_nc_u32_e32 v36, 1, v35
                                        ; implicit-def: $vgpr35
	ds_load_b64 v[1:2], v1 offset:8
.LBB5_35:                               ;   in Loop: Header=BB5_19 Depth=1
	s_or_saveexec_b32 s0, s0
	v_dual_mov_b32 v3, v19 :: v_dual_mov_b32 v4, v20
	s_xor_b32 exec_lo, exec_lo, s0
	s_cbranch_execz .LBB5_37
; %bb.36:                               ;   in Loop: Header=BB5_19 Depth=1
	s_waitcnt lgkmcnt(0)
	v_dual_mov_b32 v36, v35 :: v_dual_lshlrev_b32 v1, 3, v34
	v_add_nc_u32_e32 v34, 1, v34
	ds_load_b64 v[3:4], v1 offset:4120
	v_dual_mov_b32 v1, v17 :: v_dual_mov_b32 v2, v18
	v_dual_mov_b32 v17, v19 :: v_dual_mov_b32 v18, v20
.LBB5_37:                               ;   in Loop: Header=BB5_19 Depth=1
	s_or_b32 exec_lo, exec_lo, s0
	s_waitcnt lgkmcnt(0)
	s_delay_alu instid0(VALU_DEP_2) | instskip(SKIP_2) | instid1(SALU_CYCLE_1)
	v_cmp_le_u64_e64 s0, v[1:2], v[3:4]
	global_store_b64 v[15:16], v[17:18], off offset:8
                                        ; implicit-def: $vgpr13_vgpr14
                                        ; implicit-def: $vgpr19
	s_and_saveexec_b32 s9, s0
	s_xor_b32 s0, exec_lo, s9
	s_cbranch_execz .LBB5_39
; %bb.38:                               ;   in Loop: Header=BB5_19 Depth=1
	v_lshlrev_b32_e32 v13, 3, v36
	v_add_nc_u32_e32 v19, 1, v36
                                        ; implicit-def: $vgpr36
	ds_load_b64 v[13:14], v13 offset:8
.LBB5_39:                               ;   in Loop: Header=BB5_19 Depth=1
	s_or_saveexec_b32 s0, s0
	v_dual_mov_b32 v18, v4 :: v_dual_mov_b32 v17, v3
	s_xor_b32 exec_lo, exec_lo, s0
	s_cbranch_execz .LBB5_41
; %bb.40:                               ;   in Loop: Header=BB5_19 Depth=1
	s_waitcnt lgkmcnt(0)
	v_lshlrev_b32_e32 v13, 3, v34
	v_dual_mov_b32 v19, v36 :: v_dual_add_nc_u32 v34, 1, v34
	ds_load_b64 v[17:18], v13 offset:4120
	v_dual_mov_b32 v14, v2 :: v_dual_mov_b32 v13, v1
	v_dual_mov_b32 v1, v3 :: v_dual_mov_b32 v2, v4
.LBB5_41:                               ;   in Loop: Header=BB5_19 Depth=1
	s_or_b32 exec_lo, exec_lo, s0
	s_waitcnt lgkmcnt(0)
	s_delay_alu instid0(VALU_DEP_2) | instskip(NEXT) | instid1(VALU_DEP_1)
	v_cmp_lt_u64_e64 s0, v[13:14], v[17:18]
	v_cndmask_b32_e64 v4, v18, v14, s0
	v_cndmask_b32_e64 v3, v17, v13, s0
	global_store_b128 v[15:16], v[1:4], off offset:16
	s_and_saveexec_b32 s0, vcc_lo
	s_cbranch_execz .LBB5_17
; %bb.42:                               ;   in Loop: Header=BB5_19 Depth=1
	v_dual_mov_b32 v1, s4 :: v_dual_mov_b32 v2, s5
	s_mov_b32 s9, s5
	flat_load_b32 v3, v[1:2] glc dlc
	s_waitcnt vmcnt(0) lgkmcnt(0)
	v_add3_u32 v13, v19, v3, -1
	v_dual_mov_b32 v3, s8 :: v_dual_mov_b32 v4, s9
	flat_store_b32 v[1:2], v13 dlc
	s_waitcnt_vscnt null, 0x0
	flat_load_b32 v1, v[3:4] glc dlc
	s_waitcnt vmcnt(0) lgkmcnt(0)
	v_add3_u32 v1, v34, v1, -1
	flat_store_b32 v[3:4], v1 dlc
	s_waitcnt_vscnt null, 0x0
	s_branch .LBB5_17
.LBB5_43:
	s_endpgm
	.section	.rodata,"a",@progbits
	.p2align	6, 0x0
	.amdhsa_kernel _Z15mergeSinglePathImLb0ELb0EEvPKT_jS2_jPKjPS0_j
		.amdhsa_group_segment_fixed_size 8240
		.amdhsa_private_segment_fixed_size 0
		.amdhsa_kernarg_size 312
		.amdhsa_user_sgpr_count 15
		.amdhsa_user_sgpr_dispatch_ptr 0
		.amdhsa_user_sgpr_queue_ptr 0
		.amdhsa_user_sgpr_kernarg_segment_ptr 1
		.amdhsa_user_sgpr_dispatch_id 0
		.amdhsa_user_sgpr_private_segment_size 0
		.amdhsa_wavefront_size32 1
		.amdhsa_uses_dynamic_stack 0
		.amdhsa_enable_private_segment 0
		.amdhsa_system_sgpr_workgroup_id_x 1
		.amdhsa_system_sgpr_workgroup_id_y 0
		.amdhsa_system_sgpr_workgroup_id_z 0
		.amdhsa_system_sgpr_workgroup_info 0
		.amdhsa_system_vgpr_workitem_id 0
		.amdhsa_next_free_vgpr 48
		.amdhsa_next_free_sgpr 17
		.amdhsa_reserve_vcc 1
		.amdhsa_float_round_mode_32 0
		.amdhsa_float_round_mode_16_64 0
		.amdhsa_float_denorm_mode_32 3
		.amdhsa_float_denorm_mode_16_64 3
		.amdhsa_dx10_clamp 1
		.amdhsa_ieee_mode 1
		.amdhsa_fp16_overflow 0
		.amdhsa_workgroup_processor_mode 1
		.amdhsa_memory_ordered 1
		.amdhsa_forward_progress 0
		.amdhsa_shared_vgpr_count 0
		.amdhsa_exception_fp_ieee_invalid_op 0
		.amdhsa_exception_fp_denorm_src 0
		.amdhsa_exception_fp_ieee_div_zero 0
		.amdhsa_exception_fp_ieee_overflow 0
		.amdhsa_exception_fp_ieee_underflow 0
		.amdhsa_exception_fp_ieee_inexact 0
		.amdhsa_exception_int_div_zero 0
	.end_amdhsa_kernel
	.section	.text._Z15mergeSinglePathImLb0ELb0EEvPKT_jS2_jPKjPS0_j,"axG",@progbits,_Z15mergeSinglePathImLb0ELb0EEvPKT_jS2_jPKjPS0_j,comdat
.Lfunc_end5:
	.size	_Z15mergeSinglePathImLb0ELb0EEvPKT_jS2_jPKjPS0_j, .Lfunc_end5-_Z15mergeSinglePathImLb0ELb0EEvPKT_jS2_jPKjPS0_j
                                        ; -- End function
	.section	.AMDGPU.csdata,"",@progbits
; Kernel info:
; codeLenInByte = 2240
; NumSgprs: 19
; NumVgprs: 48
; ScratchSize: 0
; MemoryBound: 0
; FloatMode: 240
; IeeeMode: 1
; LDSByteSize: 8240 bytes/workgroup (compile time only)
; SGPRBlocks: 2
; VGPRBlocks: 5
; NumSGPRsForWavesPerEU: 19
; NumVGPRsForWavesPerEU: 48
; Occupancy: 16
; WaveLimiterHint : 1
; COMPUTE_PGM_RSRC2:SCRATCH_EN: 0
; COMPUTE_PGM_RSRC2:USER_SGPR: 15
; COMPUTE_PGM_RSRC2:TRAP_HANDLER: 0
; COMPUTE_PGM_RSRC2:TGID_X_EN: 1
; COMPUTE_PGM_RSRC2:TGID_Y_EN: 0
; COMPUTE_PGM_RSRC2:TGID_Z_EN: 0
; COMPUTE_PGM_RSRC2:TIDIG_COMP_CNT: 0
	.section	.text._Z17workloadDiagonalsIdEvPKT_jS2_jPj,"axG",@progbits,_Z17workloadDiagonalsIdEvPKT_jS2_jPj,comdat
	.protected	_Z17workloadDiagonalsIdEvPKT_jS2_jPj ; -- Begin function _Z17workloadDiagonalsIdEvPKT_jS2_jPj
	.globl	_Z17workloadDiagonalsIdEvPKT_jS2_jPj
	.p2align	8
	.type	_Z17workloadDiagonalsIdEvPKT_jS2_jPj,@function
_Z17workloadDiagonalsIdEvPKT_jS2_jPj:   ; @_Z17workloadDiagonalsIdEvPKT_jS2_jPj
; %bb.0:
	s_clause 0x4
	s_load_b64 s[4:5], s[0:1], 0x0
	s_load_b32 s21, s[0:1], 0x8
	s_load_b64 s[10:11], s[0:1], 0x10
	s_load_b32 s20, s[0:1], 0x18
	s_load_b64 s[6:7], s[0:1], 0x20
	v_cmp_ne_u32_e64 s2, 0, v0
	s_mov_b32 s8, s15
	s_mov_b32 s12, 0
	s_mov_b32 s3, exec_lo
	v_cmpx_eq_u32_e32 0, v0
	s_cbranch_execz .LBB6_5
; %bb.1:
	s_load_b32 s9, s[0:1], 0x28
	s_waitcnt lgkmcnt(0)
	s_add_u32 s14, s20, s21
	s_addc_u32 s13, 0, 0
	s_mul_hi_u32 s15, s14, s8
	s_mul_i32 s13, s13, s8
	s_delay_alu instid0(SALU_CYCLE_1) | instskip(NEXT) | instid1(SALU_CYCLE_1)
	s_add_i32 s13, s15, s13
	s_cmp_lg_u64 s[12:13], 0
	s_mul_i32 s12, s14, s8
	s_cbranch_scc0 .LBB6_21
; %bb.2:
	v_cvt_f32_u32_e32 v1, s9
	s_sub_u32 s16, 0, s9
	s_subb_u32 s17, 0, 0
	s_delay_alu instid0(VALU_DEP_1) | instskip(NEXT) | instid1(VALU_DEP_1)
	v_fmamk_f32 v1, 0, 0x4f800000, v1
	v_rcp_f32_e32 v1, v1
	s_waitcnt_depctr 0xfff
	v_mul_f32_e32 v1, 0x5f7ffffc, v1
	s_delay_alu instid0(VALU_DEP_1) | instskip(NEXT) | instid1(VALU_DEP_1)
	v_mul_f32_e32 v2, 0x2f800000, v1
	v_trunc_f32_e32 v2, v2
	s_delay_alu instid0(VALU_DEP_1) | instskip(SKIP_1) | instid1(VALU_DEP_2)
	v_fmamk_f32 v1, v2, 0xcf800000, v1
	v_cvt_u32_f32_e32 v2, v2
	v_cvt_u32_f32_e32 v1, v1
	s_delay_alu instid0(VALU_DEP_2) | instskip(NEXT) | instid1(VALU_DEP_2)
	v_readfirstlane_b32 s14, v2
	v_readfirstlane_b32 s15, v1
	s_delay_alu instid0(VALU_DEP_2) | instskip(NEXT) | instid1(VALU_DEP_1)
	s_mul_i32 s18, s16, s14
	s_mul_hi_u32 s22, s16, s15
	s_mul_i32 s19, s17, s15
	s_add_i32 s18, s22, s18
	s_mul_i32 s23, s16, s15
	s_add_i32 s18, s18, s19
	s_mul_hi_u32 s22, s15, s23
	s_mul_hi_u32 s24, s14, s23
	s_mul_i32 s19, s14, s23
	s_mul_hi_u32 s23, s15, s18
	s_mul_i32 s15, s15, s18
	s_mul_hi_u32 s25, s14, s18
	s_add_u32 s15, s22, s15
	s_addc_u32 s22, 0, s23
	s_add_u32 s15, s15, s19
	s_mul_i32 s18, s14, s18
	s_addc_u32 s15, s22, s24
	s_addc_u32 s19, s25, 0
	s_add_u32 s15, s15, s18
	s_addc_u32 s18, 0, s19
	v_add_co_u32 v1, s15, v1, s15
	s_delay_alu instid0(VALU_DEP_1) | instskip(SKIP_1) | instid1(VALU_DEP_1)
	s_cmp_lg_u32 s15, 0
	s_addc_u32 s14, s14, s18
	v_readfirstlane_b32 s15, v1
	s_mul_i32 s18, s16, s14
	s_delay_alu instid0(VALU_DEP_1)
	s_mul_hi_u32 s19, s16, s15
	s_mul_i32 s17, s17, s15
	s_add_i32 s18, s19, s18
	s_mul_i32 s16, s16, s15
	s_add_i32 s18, s18, s17
	s_mul_hi_u32 s19, s14, s16
	s_mul_i32 s22, s14, s16
	s_mul_hi_u32 s16, s15, s16
	s_mul_hi_u32 s23, s15, s18
	s_mul_i32 s15, s15, s18
	s_mul_hi_u32 s17, s14, s18
	s_add_u32 s15, s16, s15
	s_addc_u32 s16, 0, s23
	s_add_u32 s15, s15, s22
	s_mul_i32 s18, s14, s18
	s_addc_u32 s15, s16, s19
	s_addc_u32 s16, s17, 0
	s_add_u32 s15, s15, s18
	s_addc_u32 s16, 0, s16
	v_add_co_u32 v1, s15, v1, s15
	s_delay_alu instid0(VALU_DEP_1) | instskip(SKIP_1) | instid1(VALU_DEP_1)
	s_cmp_lg_u32 s15, 0
	s_addc_u32 s14, s14, s16
	v_readfirstlane_b32 s15, v1
	s_mul_i32 s17, s12, s14
	s_mul_hi_u32 s16, s12, s14
	s_mul_hi_u32 s18, s13, s14
	s_mul_i32 s14, s13, s14
	s_mul_hi_u32 s19, s12, s15
	s_mul_hi_u32 s22, s13, s15
	s_mul_i32 s15, s13, s15
	s_add_u32 s17, s19, s17
	s_addc_u32 s16, 0, s16
	s_add_u32 s15, s17, s15
	s_addc_u32 s15, s16, s22
	s_addc_u32 s16, s18, 0
	s_add_u32 s14, s15, s14
	s_addc_u32 s15, 0, s16
	s_mul_i32 s18, s9, s14
	s_mul_hi_u32 s17, s9, s14
	v_sub_co_u32 v1, s18, s12, s18
	s_mul_i32 s15, s9, s15
	s_add_u32 s16, s14, 1
	s_add_i32 s17, s17, s15
	s_delay_alu instid0(VALU_DEP_1) | instskip(SKIP_3) | instid1(VALU_DEP_2)
	v_sub_co_u32 v2, s15, v1, s9
	s_add_u32 s19, s14, 2
	s_cmp_lg_u32 s18, 0
	v_mov_b32_e32 v3, s19
	v_cmp_le_u32_e32 vcc_lo, s9, v2
	s_subb_u32 s13, s13, s17
	s_cmp_lg_u32 s15, 0
	s_subb_u32 s15, s13, 0
	v_cndmask_b32_e64 v2, 0, -1, vcc_lo
	v_cmp_le_u32_e32 vcc_lo, s9, v1
	s_cmp_eq_u32 s15, 0
	v_cndmask_b32_e64 v1, 0, -1, vcc_lo
	s_cselect_b32 vcc_lo, -1, 0
	s_cmp_eq_u32 s13, 0
	v_cndmask_b32_e32 v2, -1, v2, vcc_lo
	s_cselect_b32 vcc_lo, -1, 0
	v_cndmask_b32_e32 v1, -1, v1, vcc_lo
	s_delay_alu instid0(VALU_DEP_2) | instskip(SKIP_1) | instid1(VALU_DEP_3)
	v_cmp_ne_u32_e32 vcc_lo, 0, v2
	v_cndmask_b32_e32 v2, s16, v3, vcc_lo
	v_cmp_ne_u32_e32 vcc_lo, 0, v1
	s_delay_alu instid0(VALU_DEP_2)
	v_cndmask_b32_e32 v1, s14, v2, vcc_lo
	s_cbranch_execnz .LBB6_4
.LBB6_3:
	v_cvt_f32_u32_e32 v1, s9
	s_sub_i32 s14, 0, s9
	s_delay_alu instid0(VALU_DEP_1) | instskip(SKIP_2) | instid1(VALU_DEP_1)
	v_rcp_iflag_f32_e32 v1, v1
	s_waitcnt_depctr 0xfff
	v_mul_f32_e32 v1, 0x4f7ffffe, v1
	v_cvt_u32_f32_e32 v1, v1
	s_delay_alu instid0(VALU_DEP_1) | instskip(NEXT) | instid1(VALU_DEP_1)
	v_readfirstlane_b32 s13, v1
	s_mul_i32 s14, s14, s13
	s_delay_alu instid0(SALU_CYCLE_1) | instskip(NEXT) | instid1(SALU_CYCLE_1)
	s_mul_hi_u32 s14, s13, s14
	s_add_i32 s13, s13, s14
	s_delay_alu instid0(SALU_CYCLE_1) | instskip(NEXT) | instid1(SALU_CYCLE_1)
	s_mul_hi_u32 s13, s12, s13
	s_mul_i32 s14, s13, s9
	s_delay_alu instid0(SALU_CYCLE_1)
	s_sub_i32 s12, s12, s14
	s_add_i32 s14, s13, 1
	s_sub_i32 s15, s12, s9
	s_cmp_ge_u32 s12, s9
	s_cselect_b32 s14, s14, s13
	s_cselect_b32 s12, s15, s12
	s_add_i32 s15, s14, 1
	s_cmp_ge_u32 s12, s9
	s_mov_b32 s13, 0
	s_cselect_b32 s12, s15, s14
	s_delay_alu instid0(SALU_CYCLE_1)
	v_dual_mov_b32 v1, s12 :: v_dual_mov_b32 v2, s13
.LBB6_4:
	s_mov_b64 s[12:13], src_shared_base
	s_movk_i32 s12, 0x84
	s_delay_alu instid0(VALU_DEP_1)
	v_min_u32_e32 v6, s21, v1
	v_dual_mov_b32 v2, s12 :: v_dual_mov_b32 v3, s13
	s_movk_i32 s12, 0x88
	v_sub_nc_u32_e64 v1, v1, s21 clamp
	v_dual_mov_b32 v4, s12 :: v_dual_mov_b32 v5, s13
	flat_store_b32 v[2:3], v6 dlc
	s_waitcnt_vscnt null, 0x0
	flat_store_b32 v[4:5], v1 dlc
	s_waitcnt_vscnt null, 0x0
	flat_load_b32 v1, v[4:5] glc dlc
	s_waitcnt vmcnt(0)
	v_dual_mov_b32 v4, 0x8c :: v_dual_mov_b32 v5, s13
	s_waitcnt lgkmcnt(0)
	flat_store_b32 v[4:5], v1 dlc
	s_waitcnt_vscnt null, 0x0
	flat_load_b32 v1, v[2:3] glc dlc
	s_waitcnt vmcnt(0)
	v_mov_b32_e32 v4, 0x90
	s_waitcnt lgkmcnt(0)
	flat_store_b32 v[4:5], v1 dlc
	s_waitcnt_vscnt null, 0x0
	v_dual_mov_b32 v1, 0 :: v_dual_mov_b32 v4, 0x80
	flat_store_b32 v[4:5], v1 dlc
	s_waitcnt_vscnt null, 0x0
.LBB6_5:
	s_or_b32 exec_lo, exec_lo, s3
	s_mov_b64 s[12:13], src_shared_base
	s_delay_alu instid0(SALU_CYCLE_1)
	v_dual_mov_b32 v1, 0x80 :: v_dual_mov_b32 v2, s13
	s_waitcnt lgkmcnt(0)
	s_barrier
	buffer_gl0_inv
	s_mov_b32 s3, exec_lo
	flat_load_b32 v1, v[1:2] glc dlc
	s_waitcnt vmcnt(0) lgkmcnt(0)
	v_cmpx_ne_u32_e32 0, v1
	s_xor_b32 s3, exec_lo, s3
	s_delay_alu instid0(SALU_CYCLE_1)
	s_or_saveexec_b32 s22, s3
	v_mov_b32_e32 v1, s8
	s_xor_b32 exec_lo, exec_lo, s22
	s_cbranch_execz .LBB6_18
; %bb.6:
	s_mov_b32 s13, 0
	s_mov_b64 s[18:19], src_shared_base
	s_mov_b32 s9, s13
	s_movk_i32 s18, 0x84
	v_lshlrev_b32_e32 v15, 2, v0
	v_dual_mov_b32 v1, s18 :: v_dual_add_nc_u32 v16, -16, v0
	s_lshl_b64 s[14:15], s[8:9], 2
	v_mov_b32_e32 v2, s19
	s_movk_i32 s18, 0x88
	s_add_u32 s14, s6, s14
	s_addc_u32 s15, s7, s15
	v_dual_mov_b32 v5, s18 :: v_dual_mov_b32 v8, s19
	v_dual_mov_b32 v4, s19 :: v_dual_add_nc_u32 v17, -4, v15
	s_add_u32 s16, s0, 40
	v_cmp_eq_u32_e32 vcc_lo, 16, v0
	v_dual_mov_b32 v3, 0x8c :: v_dual_mov_b32 v6, s19
	v_dual_mov_b32 v7, 0x90 :: v_dual_mov_b32 v18, 1
	v_dual_mov_b32 v10, 0 :: v_dual_mov_b32 v11, 0x80
	v_dual_mov_b32 v12, s19 :: v_dual_mov_b32 v19, 0x84
	v_mov_b32_e32 v20, 0x88
	s_addc_u32 s17, s1, 0
	s_add_i32 s9, s8, 1
	s_add_u32 s18, s4, -8
	s_addc_u32 s23, s5, -1
	s_mov_b32 s5, 0
	s_branch .LBB6_8
.LBB6_7:                                ;   in Loop: Header=BB6_8 Depth=1
	s_or_b32 exec_lo, exec_lo, s4
	s_waitcnt lgkmcnt(0)
	s_barrier
	buffer_gl0_inv
	flat_load_b32 v9, v[11:12] glc dlc
	s_waitcnt vmcnt(0) lgkmcnt(0)
	v_cmp_ne_u32_e64 s3, 0, v9
	s_delay_alu instid0(VALU_DEP_1) | instskip(NEXT) | instid1(SALU_CYCLE_1)
	s_or_b32 s5, s3, s5
	s_and_not1_b32 exec_lo, exec_lo, s5
	s_cbranch_execz .LBB6_17
.LBB6_8:                                ; =>This Inner Loop Header: Depth=1
	flat_load_b32 v9, v[1:2] glc dlc
	s_waitcnt vmcnt(0)
	flat_load_b32 v13, v[1:2] glc dlc
	s_waitcnt vmcnt(0)
	flat_load_b32 v14, v[3:4] glc dlc
	s_waitcnt vmcnt(0)
	flat_load_b32 v21, v[5:6] glc dlc
	s_waitcnt vmcnt(0)
	flat_load_b32 v22, v[7:8] glc dlc
	s_waitcnt vmcnt(0)
	flat_load_b32 v23, v[5:6] glc dlc
	s_waitcnt vmcnt(0) lgkmcnt(3)
	v_sub_nc_u32_e32 v13, v13, v14
	s_waitcnt lgkmcnt(0)
	v_sub_nc_u32_e32 v14, v22, v23
	s_delay_alu instid0(VALU_DEP_2) | instskip(NEXT) | instid1(VALU_DEP_1)
	v_ashrrev_i32_e32 v13, 1, v13
	v_add_nc_u32_e32 v13, v0, v13
	s_delay_alu instid0(VALU_DEP_1) | instskip(NEXT) | instid1(VALU_DEP_4)
	v_sub_nc_u32_e32 v9, v9, v13
	v_ashrrev_i32_e32 v13, 1, v14
	s_delay_alu instid0(VALU_DEP_2) | instskip(NEXT) | instid1(VALU_DEP_2)
	v_dual_mov_b32 v14, 0 :: v_dual_add_nc_u32 v9, 16, v9
	v_add3_u32 v13, v21, v16, v13
	s_delay_alu instid0(VALU_DEP_2) | instskip(NEXT) | instid1(VALU_DEP_2)
	v_cmp_gt_i32_e64 s3, s21, v9
	v_cmp_lt_i32_e64 s4, -1, v13
	s_delay_alu instid0(VALU_DEP_1) | instskip(NEXT) | instid1(SALU_CYCLE_1)
	s_and_b32 s3, s3, s4
	s_and_saveexec_b32 s12, s3
	s_cbranch_execz .LBB6_12
; %bb.9:                                ;   in Loop: Header=BB6_8 Depth=1
	v_cmp_gt_i32_e64 s3, s20, v13
	v_cmp_lt_i32_e64 s4, 0, v9
	v_mov_b32_e32 v14, 1
	s_delay_alu instid0(VALU_DEP_2) | instskip(NEXT) | instid1(SALU_CYCLE_1)
	s_and_b32 s3, s4, s3
	s_and_saveexec_b32 s4, s3
	s_cbranch_execz .LBB6_11
; %bb.10:                               ;   in Loop: Header=BB6_8 Depth=1
	v_mov_b32_e32 v14, v10
	v_lshlrev_b64 v[21:22], 3, v[9:10]
	s_delay_alu instid0(VALU_DEP_2) | instskip(NEXT) | instid1(VALU_DEP_2)
	v_lshlrev_b64 v[23:24], 3, v[13:14]
	v_add_co_u32 v21, s3, s18, v21
	s_delay_alu instid0(VALU_DEP_1) | instskip(NEXT) | instid1(VALU_DEP_3)
	v_add_co_ci_u32_e64 v22, s3, s23, v22, s3
	v_add_co_u32 v23, s3, s10, v23
	s_delay_alu instid0(VALU_DEP_1) | instskip(SKIP_4) | instid1(VALU_DEP_1)
	v_add_co_ci_u32_e64 v24, s3, s11, v24, s3
	global_load_b64 v[21:22], v[21:22], off
	global_load_b64 v[23:24], v[23:24], off
	s_waitcnt vmcnt(0)
	v_cmp_le_f64_e64 s3, v[21:22], v[23:24]
	v_cndmask_b32_e64 v14, 0, 1, s3
.LBB6_11:                               ;   in Loop: Header=BB6_8 Depth=1
	s_or_b32 exec_lo, exec_lo, s4
.LBB6_12:                               ;   in Loop: Header=BB6_8 Depth=1
	s_delay_alu instid0(SALU_CYCLE_1)
	s_or_b32 exec_lo, exec_lo, s12
	ds_store_b32 v15, v14
	s_waitcnt lgkmcnt(0)
	s_barrier
	buffer_gl0_inv
	s_and_saveexec_b32 s4, s2
	s_cbranch_execz .LBB6_15
; %bb.13:                               ;   in Loop: Header=BB6_8 Depth=1
	ds_load_2addr_b32 v[21:22], v17 offset1:1
	s_waitcnt lgkmcnt(0)
	v_cmp_ne_u32_e64 s3, v22, v21
	s_delay_alu instid0(VALU_DEP_1)
	s_and_b32 exec_lo, exec_lo, s3
	s_cbranch_execz .LBB6_15
; %bb.14:                               ;   in Loop: Header=BB6_8 Depth=1
	flat_store_b32 v[11:12], v18 dlc
	s_waitcnt_vscnt null, 0x0
	s_load_b32 s3, s[16:17], 0x0
	s_waitcnt lgkmcnt(0)
	s_add_i32 s12, s9, s3
	s_delay_alu instid0(SALU_CYCLE_1) | instskip(NEXT) | instid1(SALU_CYCLE_1)
	s_lshl_b64 s[24:25], s[12:13], 2
	s_add_u32 s24, s6, s24
	s_addc_u32 s25, s7, s25
	s_clause 0x1
	global_store_b32 v10, v9, s[14:15]
	global_store_b32 v10, v13, s[24:25]
.LBB6_15:                               ;   in Loop: Header=BB6_8 Depth=1
	s_or_b32 exec_lo, exec_lo, s4
	s_waitcnt_vscnt null, 0x0
	s_barrier
	buffer_gl0_inv
	s_and_saveexec_b32 s4, vcc_lo
	s_cbranch_execz .LBB6_7
; %bb.16:                               ;   in Loop: Header=BB6_8 Depth=1
	ds_load_b32 v14, v10 offset:124
	v_mov_b32_e32 v22, s19
	v_mov_b32_e32 v24, s19
	s_waitcnt lgkmcnt(0)
	v_cmp_eq_u32_e64 s3, 0, v14
	s_delay_alu instid0(VALU_DEP_1)
	v_cndmask_b32_e64 v21, 0x8c, v19, s3
	v_cndmask_b32_e64 v23, 0x90, v20, s3
	flat_store_b32 v[21:22], v9 dlc
	s_waitcnt_vscnt null, 0x0
	flat_store_b32 v[23:24], v13 dlc
	s_waitcnt_vscnt null, 0x0
	s_branch .LBB6_7
.LBB6_17:
	s_or_b32 exec_lo, exec_lo, s5
	v_mov_b32_e32 v1, s8
.LBB6_18:
	s_or_b32 exec_lo, exec_lo, s22
	s_delay_alu instid0(VALU_DEP_1) | instskip(SKIP_2) | instid1(VALU_DEP_1)
	v_or_b32_e32 v0, v0, v1
	s_mov_b32 s3, 0
	s_mov_b32 s2, exec_lo
	v_cmpx_eq_u32_e32 0, v0
	s_cbranch_execz .LBB6_20
; %bb.19:
	s_load_b32 s2, s[0:1], 0x28
	s_mov_b32 s1, s3
	v_dual_mov_b32 v0, 0 :: v_dual_mov_b32 v1, s21
	v_mov_b32_e32 v2, s20
	global_store_b32 v0, v0, s[6:7]
	s_waitcnt lgkmcnt(0)
	s_add_i32 s0, s2, 1
	s_delay_alu instid0(SALU_CYCLE_1) | instskip(NEXT) | instid1(SALU_CYCLE_1)
	s_lshl_b64 s[0:1], s[0:1], 2
	s_add_u32 s0, s6, s0
	s_addc_u32 s1, s7, s1
	s_lshl_b64 s[4:5], s[2:3], 2
	s_delay_alu instid0(SALU_CYCLE_1) | instskip(SKIP_2) | instid1(SALU_CYCLE_1)
	s_add_u32 s4, s6, s4
	s_addc_u32 s5, s7, s5
	s_lshl_b32 s2, s2, 1
	s_lshl_b64 s[2:3], s[2:3], 2
	s_delay_alu instid0(SALU_CYCLE_1)
	s_add_u32 s2, s6, s2
	s_addc_u32 s3, s7, s3
	s_clause 0x2
	global_store_b32 v0, v0, s[0:1]
	global_store_b32 v0, v1, s[4:5]
	global_store_b32 v0, v2, s[2:3] offset:4
.LBB6_20:
	s_nop 0
	s_sendmsg sendmsg(MSG_DEALLOC_VGPRS)
	s_endpgm
.LBB6_21:
                                        ; implicit-def: $vgpr1_vgpr2
	s_branch .LBB6_3
	.section	.rodata,"a",@progbits
	.p2align	6, 0x0
	.amdhsa_kernel _Z17workloadDiagonalsIdEvPKT_jS2_jPj
		.amdhsa_group_segment_fixed_size 148
		.amdhsa_private_segment_fixed_size 0
		.amdhsa_kernarg_size 296
		.amdhsa_user_sgpr_count 15
		.amdhsa_user_sgpr_dispatch_ptr 0
		.amdhsa_user_sgpr_queue_ptr 0
		.amdhsa_user_sgpr_kernarg_segment_ptr 1
		.amdhsa_user_sgpr_dispatch_id 0
		.amdhsa_user_sgpr_private_segment_size 0
		.amdhsa_wavefront_size32 1
		.amdhsa_uses_dynamic_stack 0
		.amdhsa_enable_private_segment 0
		.amdhsa_system_sgpr_workgroup_id_x 1
		.amdhsa_system_sgpr_workgroup_id_y 0
		.amdhsa_system_sgpr_workgroup_id_z 0
		.amdhsa_system_sgpr_workgroup_info 0
		.amdhsa_system_vgpr_workitem_id 0
		.amdhsa_next_free_vgpr 25
		.amdhsa_next_free_sgpr 26
		.amdhsa_reserve_vcc 1
		.amdhsa_float_round_mode_32 0
		.amdhsa_float_round_mode_16_64 0
		.amdhsa_float_denorm_mode_32 3
		.amdhsa_float_denorm_mode_16_64 3
		.amdhsa_dx10_clamp 1
		.amdhsa_ieee_mode 1
		.amdhsa_fp16_overflow 0
		.amdhsa_workgroup_processor_mode 1
		.amdhsa_memory_ordered 1
		.amdhsa_forward_progress 0
		.amdhsa_shared_vgpr_count 0
		.amdhsa_exception_fp_ieee_invalid_op 0
		.amdhsa_exception_fp_denorm_src 0
		.amdhsa_exception_fp_ieee_div_zero 0
		.amdhsa_exception_fp_ieee_overflow 0
		.amdhsa_exception_fp_ieee_underflow 0
		.amdhsa_exception_fp_ieee_inexact 0
		.amdhsa_exception_int_div_zero 0
	.end_amdhsa_kernel
	.section	.text._Z17workloadDiagonalsIdEvPKT_jS2_jPj,"axG",@progbits,_Z17workloadDiagonalsIdEvPKT_jS2_jPj,comdat
.Lfunc_end6:
	.size	_Z17workloadDiagonalsIdEvPKT_jS2_jPj, .Lfunc_end6-_Z17workloadDiagonalsIdEvPKT_jS2_jPj
                                        ; -- End function
	.section	.AMDGPU.csdata,"",@progbits
; Kernel info:
; codeLenInByte = 1928
; NumSgprs: 28
; NumVgprs: 25
; ScratchSize: 0
; MemoryBound: 0
; FloatMode: 240
; IeeeMode: 1
; LDSByteSize: 148 bytes/workgroup (compile time only)
; SGPRBlocks: 3
; VGPRBlocks: 3
; NumSGPRsForWavesPerEU: 28
; NumVGPRsForWavesPerEU: 25
; Occupancy: 16
; WaveLimiterHint : 1
; COMPUTE_PGM_RSRC2:SCRATCH_EN: 0
; COMPUTE_PGM_RSRC2:USER_SGPR: 15
; COMPUTE_PGM_RSRC2:TRAP_HANDLER: 0
; COMPUTE_PGM_RSRC2:TGID_X_EN: 1
; COMPUTE_PGM_RSRC2:TGID_Y_EN: 0
; COMPUTE_PGM_RSRC2:TGID_Z_EN: 0
; COMPUTE_PGM_RSRC2:TIDIG_COMP_CNT: 0
	.section	.text._Z15mergeSinglePathIdLb0ELb0EEvPKT_jS2_jPKjPS0_j,"axG",@progbits,_Z15mergeSinglePathIdLb0ELb0EEvPKT_jS2_jPKjPS0_j,comdat
	.protected	_Z15mergeSinglePathIdLb0ELb0EEvPKT_jS2_jPKjPS0_j ; -- Begin function _Z15mergeSinglePathIdLb0ELb0EEvPKT_jS2_jPKjPS0_j
	.globl	_Z15mergeSinglePathIdLb0ELb0EEvPKT_jS2_jPKjPS0_j
	.p2align	8
	.type	_Z15mergeSinglePathIdLb0ELb0EEvPKT_jS2_jPKjPS0_j,@function
_Z15mergeSinglePathIdLb0ELb0EEvPKT_jS2_jPKjPS0_j: ; @_Z15mergeSinglePathIdLb0ELb0EEvPKT_jS2_jPKjPS0_j
; %bb.0:
	s_clause 0x2
	s_load_b64 s[10:11], s[0:1], 0x0
	s_load_b64 s[8:9], s[0:1], 0x10
	s_load_b128 s[4:7], s[0:1], 0x20
	v_alignbit_b32 v1, v0, v0, 5
	s_mov_b32 s2, s15
	s_mov_b32 s3, exec_lo
	s_delay_alu instid0(VALU_DEP_1)
	v_cmpx_lt_i32_e32 1, v1
	s_xor_b32 s3, exec_lo, s3
	s_cbranch_execz .LBB7_8
; %bb.1:
	s_mov_b32 s12, exec_lo
	v_cmpx_lt_i32_e32 2, v1
	s_xor_b32 s12, exec_lo, s12
	s_cbranch_execz .LBB7_5
; %bb.2:
	s_mov_b32 s13, exec_lo
	v_cmpx_eq_u32_e32 3, v1
	s_cbranch_execz .LBB7_4
; %bb.3:
	s_load_b32 s14, s[0:1], 0x38
	s_mov_b32 s15, 0
	v_dual_mov_b32 v3, -1 :: v_dual_mov_b32 v4, 0x7fefffff
	v_mov_b32_e32 v6, 0
	s_waitcnt lgkmcnt(0)
	s_add_i32 s14, s2, s14
	s_delay_alu instid0(SALU_CYCLE_1) | instskip(NEXT) | instid1(SALU_CYCLE_1)
	s_add_i32 s14, s14, 2
	s_lshl_b64 s[14:15], s[14:15], 2
	s_delay_alu instid0(SALU_CYCLE_1) | instskip(SKIP_3) | instid1(SALU_CYCLE_1)
	s_add_u32 s14, s4, s14
	s_addc_u32 s15, s5, s15
	s_load_b32 s16, s[14:15], 0x0
	s_mov_b64 s[14:15], src_shared_base
	v_dual_mov_b32 v1, 0x202c :: v_dual_mov_b32 v2, s15
	s_waitcnt lgkmcnt(0)
	v_mov_b32_e32 v5, s16
	flat_store_b32 v[1:2], v5 dlc
	s_waitcnt_vscnt null, 0x0
	ds_store_b64 v6, v[3:4] offset:8216
.LBB7_4:
	s_or_b32 exec_lo, exec_lo, s13
.LBB7_5:
	s_and_not1_saveexec_b32 s12, s12
	s_cbranch_execz .LBB7_7
; %bb.6:
	s_load_b32 s13, s[0:1], 0x38
	s_mov_b32 s15, 0
	v_dual_mov_b32 v3, -1 :: v_dual_mov_b32 v4, 0x7fefffff
	v_mov_b32_e32 v6, 0
	s_waitcnt lgkmcnt(0)
	s_add_i32 s13, s2, s13
	s_delay_alu instid0(SALU_CYCLE_1) | instskip(NEXT) | instid1(SALU_CYCLE_1)
	s_add_i32 s14, s13, 1
	s_lshl_b64 s[14:15], s[14:15], 2
	s_delay_alu instid0(SALU_CYCLE_1) | instskip(SKIP_3) | instid1(SALU_CYCLE_1)
	s_add_u32 s14, s4, s14
	s_addc_u32 s15, s5, s15
	s_load_b32 s13, s[14:15], 0x0
	s_mov_b64 s[14:15], src_shared_base
	v_dual_mov_b32 v1, 0x2024 :: v_dual_mov_b32 v2, s15
	s_waitcnt lgkmcnt(0)
	v_mov_b32_e32 v5, s13
	flat_store_b32 v[1:2], v5 dlc
	s_waitcnt_vscnt null, 0x0
	ds_store_b64 v6, v[3:4] offset:4104
.LBB7_7:
	s_or_b32 exec_lo, exec_lo, s12
                                        ; implicit-def: $vgpr1
.LBB7_8:
	s_and_not1_saveexec_b32 s14, s3
	s_cbranch_execz .LBB7_16
; %bb.9:
	s_mov_b32 s13, 0
	s_mov_b32 s3, exec_lo
	v_cmpx_lt_i32_e32 0, v1
	s_xor_b32 s3, exec_lo, s3
	s_cbranch_execz .LBB7_11
; %bb.10:
	s_add_i32 s12, s2, 1
	v_dual_mov_b32 v3, 0 :: v_dual_mov_b32 v4, 0x100000
	s_lshl_b64 s[12:13], s[12:13], 2
	s_waitcnt lgkmcnt(0)
	s_add_u32 s12, s4, s12
	s_addc_u32 s13, s5, s13
	s_load_b32 s15, s[12:13], 0x0
	s_mov_b64 s[12:13], src_shared_base
	s_delay_alu instid0(SALU_CYCLE_1)
	v_dual_mov_b32 v1, 0x2028 :: v_dual_mov_b32 v2, s13
	s_waitcnt lgkmcnt(0)
	v_mov_b32_e32 v5, s15
	flat_store_b32 v[1:2], v5 dlc
	s_waitcnt_vscnt null, 0x0
	ds_store_b64 v3, v[3:4] offset:4112
                                        ; implicit-def: $vgpr1
.LBB7_11:
	s_and_not1_saveexec_b32 s12, s3
	s_cbranch_execz .LBB7_15
; %bb.12:
	s_mov_b32 s3, 0
	s_mov_b32 s13, exec_lo
	v_cmpx_eq_u32_e32 0, v1
	s_cbranch_execz .LBB7_14
; %bb.13:
	s_lshl_b64 s[2:3], s[2:3], 2
	v_dual_mov_b32 v3, 0 :: v_dual_mov_b32 v4, 0x100000
	s_waitcnt lgkmcnt(0)
	s_add_u32 s2, s4, s2
	s_addc_u32 s3, s5, s3
	s_load_b32 s4, s[2:3], 0x0
	s_mov_b64 s[2:3], src_shared_base
	s_delay_alu instid0(SALU_CYCLE_1)
	v_dual_mov_b32 v1, 0x2020 :: v_dual_mov_b32 v2, s3
	s_waitcnt lgkmcnt(0)
	v_mov_b32_e32 v5, s4
	flat_store_b32 v[1:2], v5 dlc
	s_waitcnt_vscnt null, 0x0
	ds_store_b64 v3, v[3:4]
.LBB7_14:
	s_or_b32 exec_lo, exec_lo, s13
.LBB7_15:
	s_delay_alu instid0(SALU_CYCLE_1)
	s_or_b32 exec_lo, exec_lo, s12
.LBB7_16:
	s_delay_alu instid0(SALU_CYCLE_1)
	s_or_b32 exec_lo, exec_lo, s14
	v_dual_mov_b32 v8, 0x2020 :: v_dual_lshlrev_b32 v21, 3, v0
	s_waitcnt lgkmcnt(0)
	s_mov_b64 s[4:5], src_shared_base
	s_add_u32 s2, s0, 56
	s_addc_u32 s3, s1, 0
	v_dual_mov_b32 v7, s5 :: v_dual_add_nc_u32 v24, 0x1010, v21
	s_add_u32 s0, s10, -8
	v_dual_mov_b32 v5, 0 :: v_dual_lshlrev_b32 v22, 1, v0
	v_dual_mov_b32 v10, 0x2028 :: v_dual_lshlrev_b32 v23, 2, v0
	s_delay_alu instid0(VALU_DEP_3)
	v_mad_u32_u24 v1, v0, 24, v24
	s_addc_u32 s1, s11, -1
	s_add_u32 s8, s8, -8
	v_add_co_u32 v28, s0, s0, v21
	s_addc_u32 s9, s9, -1
	v_add_co_ci_u32_e64 v29, null, s1, 0, s0
	v_add_co_u32 v30, s0, s8, v21
	v_cmp_eq_u32_e32 vcc_lo, 0x7f, v0
	v_or_b32_e32 v25, 2, v23
	v_or_b32_e32 v26, 1, v22
	v_dual_mov_b32 v6, 0x2024 :: v_dual_add_nc_u32 v27, 16, v1
	v_add_co_ci_u32_e64 v31, null, s9, 0, s0
	v_dual_mov_b32 v9, s5 :: v_dual_add_nc_u32 v32, 24, v1
	v_dual_mov_b32 v11, s5 :: v_dual_mov_b32 v12, 0x202c
	v_lshlrev_b32_e32 v33, 3, v23
	s_mov_b32 s10, 0
	s_movk_i32 s4, 0x2020
	s_movk_i32 s8, 0x2024
	s_barrier
	buffer_gl0_inv
	s_branch .LBB7_19
.LBB7_17:                               ;   in Loop: Header=BB7_19 Depth=1
	s_or_b32 exec_lo, exec_lo, s0
	s_delay_alu instid0(SALU_CYCLE_1)
	s_xor_b32 s0, exec_lo, -1
	s_waitcnt lgkmcnt(0)
	s_waitcnt_vscnt null, 0x0
	s_barrier
	buffer_gl0_inv
.LBB7_18:                               ;   in Loop: Header=BB7_19 Depth=1
	s_or_b32 exec_lo, exec_lo, s11
	s_delay_alu instid0(SALU_CYCLE_1) | instskip(NEXT) | instid1(SALU_CYCLE_1)
	s_and_b32 s0, exec_lo, s0
	s_or_b32 s10, s0, s10
	s_delay_alu instid0(SALU_CYCLE_1)
	s_and_not1_b32 exec_lo, exec_lo, s10
	s_cbranch_execz .LBB7_43
.LBB7_19:                               ; =>This Loop Header: Depth=1
                                        ;     Child Loop BB7_24 Depth 2
	flat_load_b32 v1, v[8:9] glc dlc
	s_waitcnt vmcnt(0)
	flat_load_b32 v2, v[10:11] glc dlc
	s_waitcnt vmcnt(0)
	s_mov_b32 s9, -1
	s_mov_b32 s1, exec_lo
	s_waitcnt lgkmcnt(0)
	v_cmpx_ge_u32_e64 v1, v2
	s_cbranch_execz .LBB7_21
; %bb.20:                               ;   in Loop: Header=BB7_19 Depth=1
	v_mov_b32_e32 v13, v7
	flat_load_b32 v1, v[6:7] glc dlc
	s_waitcnt vmcnt(0)
	flat_load_b32 v2, v[12:13] glc dlc
	s_waitcnt vmcnt(0) lgkmcnt(0)
	v_cmp_lt_u32_e64 s0, v1, v2
	s_delay_alu instid0(VALU_DEP_1)
	s_or_not1_b32 s9, s0, exec_lo
.LBB7_21:                               ;   in Loop: Header=BB7_19 Depth=1
	s_or_b32 exec_lo, exec_lo, s1
	s_mov_b32 s0, -1
	s_and_saveexec_b32 s11, s9
	s_cbranch_execz .LBB7_18
; %bb.22:                               ;   in Loop: Header=BB7_19 Depth=1
	s_mov_b32 s9, s5
	v_dual_mov_b32 v1, s4 :: v_dual_mov_b32 v2, s5
	v_dual_mov_b32 v14, s9 :: v_dual_mov_b32 v13, s8
                                        ; implicit-def: $sgpr12
	flat_load_b32 v4, v[1:2] glc dlc
	s_waitcnt vmcnt(0)
	flat_load_b32 v15, v[13:14] glc dlc
	s_waitcnt vmcnt(0)
	s_load_b32 s0, s[2:3], 0xc
	s_waitcnt lgkmcnt(0)
	s_and_b32 s1, s0, 0xffff
	s_delay_alu instid0(SALU_CYCLE_1) | instskip(NEXT) | instid1(SALU_CYCLE_1)
	s_lshl_b32 s9, s1, 3
	v_dual_mov_b32 v16, v5 :: v_dual_add_nc_u32 v43, s9, v21
	v_add_lshl_u32 v42, v0, s1, 3
	s_mov_b32 s1, 0
	s_delay_alu instid0(VALU_DEP_2) | instskip(NEXT) | instid1(VALU_DEP_2)
	v_add_nc_u32_e32 v45, s9, v43
	v_add3_u32 v44, 0x1010, v42, s9
	s_delay_alu instid0(VALU_DEP_2) | instskip(NEXT) | instid1(VALU_DEP_2)
	v_add_nc_u32_e32 v47, s9, v45
	v_add_nc_u32_e32 v46, s9, v44
	v_lshlrev_b64 v[3:4], 3, v[4:5]
	v_lshlrev_b64 v[15:16], 3, v[15:16]
	s_delay_alu instid0(VALU_DEP_2) | instskip(NEXT) | instid1(VALU_DEP_1)
	v_add_co_u32 v3, s0, v28, v3
	v_add_co_ci_u32_e64 v4, s0, v29, v4, s0
	s_delay_alu instid0(VALU_DEP_3) | instskip(NEXT) | instid1(VALU_DEP_1)
	v_add_co_u32 v15, s0, v30, v15
	v_add_co_ci_u32_e64 v16, s0, v31, v16, s0
	global_load_b64 v[17:18], v[3:4], off offset:8
	v_add_co_u32 v3, s0, v3, s9
	s_delay_alu instid0(VALU_DEP_1) | instskip(SKIP_2) | instid1(VALU_DEP_1)
	v_add_co_ci_u32_e64 v4, s0, 0, v4, s0
	global_load_b64 v[19:20], v[15:16], off offset:8
	v_add_co_u32 v15, s0, v15, s9
	v_add_co_ci_u32_e64 v16, s0, 0, v16, s0
	global_load_b64 v[34:35], v[3:4], off offset:8
	v_add_co_u32 v3, s0, v3, s9
	s_delay_alu instid0(VALU_DEP_1) | instskip(SKIP_1) | instid1(VALU_DEP_1)
	v_add_co_ci_u32_e64 v4, s0, 0, v4, s0
	v_add_co_u32 v36, s0, v15, s9
	v_add_co_ci_u32_e64 v37, s0, 0, v16, s0
	s_delay_alu instid0(VALU_DEP_4) | instskip(NEXT) | instid1(VALU_DEP_1)
	v_add_co_u32 v38, s0, v3, s9
	v_add_co_ci_u32_e64 v39, s0, 0, v4, s0
	s_delay_alu instid0(VALU_DEP_4) | instskip(NEXT) | instid1(VALU_DEP_1)
	v_add_co_u32 v40, s0, v36, s9
	v_add_co_ci_u32_e64 v41, s0, 0, v37, s0
	global_load_b64 v[15:16], v[15:16], off offset:8
	global_load_b64 v[3:4], v[3:4], off offset:8
	global_load_b64 v[36:37], v[36:37], off offset:8
	global_load_b64 v[38:39], v[38:39], off offset:8
	global_load_b64 v[40:41], v[40:41], off offset:8
	s_mov_b32 s9, 0
	s_waitcnt vmcnt(7)
	ds_store_b64 v21, v[17:18] offset:8
	s_waitcnt vmcnt(6)
	ds_store_b64 v24, v[19:20] offset:8
	;; [unrolled: 2-line block ×8, first 2 shown]
	v_mov_b32_e32 v3, v26
	flat_load_b32 v4, v[1:2] glc dlc
	s_waitcnt vmcnt(0)
	flat_load_b32 v1, v[13:14] glc dlc
	s_waitcnt vmcnt(0)
	v_mov_b32_e32 v2, v22
	s_waitcnt lgkmcnt(0)
	s_barrier
	buffer_gl0_inv
	s_set_inst_prefetch_distance 0x1
	s_branch .LBB7_24
	.p2align	6
.LBB7_23:                               ;   in Loop: Header=BB7_24 Depth=2
	s_or_b32 exec_lo, exec_lo, s12
	s_delay_alu instid0(SALU_CYCLE_1) | instskip(SKIP_2) | instid1(SALU_CYCLE_1)
	s_and_b32 s0, exec_lo, s9
	s_mov_b32 s9, 0
	s_or_b32 s1, s0, s1
                                        ; implicit-def: $sgpr12
	s_and_not1_b32 exec_lo, exec_lo, s1
	s_cbranch_execz .LBB7_29
.LBB7_24:                               ;   Parent Loop BB7_19 Depth=1
                                        ; =>  This Inner Loop Header: Depth=2
	v_dual_mov_b32 v15, v3 :: v_dual_add_nc_u32 v2, 1, v2
	s_or_b32 s12, s12, exec_lo
	s_mov_b32 s13, exec_lo
	s_delay_alu instid0(VALU_DEP_1) | instskip(SKIP_2) | instid1(VALU_DEP_3)
	v_not_b32_e32 v17, v15
	v_lshlrev_b32_e32 v16, 3, v15
	v_lshrrev_b32_e32 v2, 1, v2
	v_lshl_add_u32 v3, v17, 3, v27
	ds_load_b64 v[13:14], v16
	ds_load_b64 v[18:19], v3
                                        ; implicit-def: $vgpr3
	s_waitcnt lgkmcnt(0)
	v_cmpx_ngt_f64_e32 v[13:14], v[18:19]
; %bb.25:                               ;   in Loop: Header=BB7_24 Depth=2
	v_add_nc_u32_e32 v3, v2, v15
	s_and_not1_b32 s12, s12, exec_lo
; %bb.26:                               ;   in Loop: Header=BB7_24 Depth=2
	s_or_b32 exec_lo, exec_lo, s13
	s_delay_alu instid0(SALU_CYCLE_1) | instskip(NEXT) | instid1(SALU_CYCLE_1)
	s_and_b32 s0, exec_lo, s12
	s_or_b32 s9, s0, s9
	s_delay_alu instid0(SALU_CYCLE_1)
	s_and_not1_b32 exec_lo, exec_lo, s9
	s_cbranch_execnz .LBB7_24
; %bb.27:                               ;   in Loop: Header=BB7_24 Depth=2
	s_or_b32 exec_lo, exec_lo, s9
	v_add_nc_u32_e32 v3, -8, v16
	v_lshl_add_u32 v19, v17, 3, v32
	s_mov_b32 s9, -1
	s_mov_b32 s12, exec_lo
	ds_load_b64 v[17:18], v3
	ds_load_b64 v[19:20], v19
                                        ; implicit-def: $vgpr3
	s_waitcnt lgkmcnt(0)
	v_cmpx_nle_f64_e32 v[17:18], v[19:20]
	s_cbranch_execz .LBB7_23
; %bb.28:                               ;   in Loop: Header=BB7_24 Depth=2
	v_sub_nc_u32_e32 v3, v15, v2
	s_xor_b32 s9, exec_lo, -1
	s_branch .LBB7_23
.LBB7_29:                               ;   in Loop: Header=BB7_19 Depth=1
	s_set_inst_prefetch_distance 0x2
	s_or_b32 exec_lo, exec_lo, s1
	v_sub_nc_u32_e32 v2, v23, v15
	v_sub_nc_u32_e32 v34, v25, v15
                                        ; implicit-def: $vgpr17_vgpr18
                                        ; implicit-def: $vgpr35
	s_delay_alu instid0(VALU_DEP_2) | instskip(SKIP_3) | instid1(VALU_DEP_1)
	v_lshlrev_b32_e32 v36, 3, v2
	ds_load_b64 v[2:3], v36 offset:4128
	s_waitcnt lgkmcnt(0)
	v_cmp_ngt_f64_e64 s0, v[13:14], v[2:3]
	s_and_saveexec_b32 s1, s0
	s_delay_alu instid0(SALU_CYCLE_1)
	s_xor_b32 s0, exec_lo, s1
	s_cbranch_execz .LBB7_31
; %bb.30:                               ;   in Loop: Header=BB7_19 Depth=1
	ds_load_b64 v[17:18], v16 offset:8
	v_add_nc_u32_e32 v35, 1, v15
                                        ; implicit-def: $vgpr36
.LBB7_31:                               ;   in Loop: Header=BB7_19 Depth=1
	s_or_saveexec_b32 s0, s0
	v_dual_mov_b32 v20, v3 :: v_dual_mov_b32 v19, v2
	s_xor_b32 exec_lo, exec_lo, s0
	s_cbranch_execz .LBB7_33
; %bb.32:                               ;   in Loop: Header=BB7_19 Depth=1
	v_dual_mov_b32 v35, v15 :: v_dual_add_nc_u32 v16, 0x1010, v36
	s_waitcnt lgkmcnt(0)
	v_mov_b32_e32 v18, v14
	v_dual_mov_b32 v17, v13 :: v_dual_add_nc_u32 v34, 1, v34
	ds_load_b64 v[19:20], v16 offset:24
	v_dual_mov_b32 v14, v3 :: v_dual_mov_b32 v13, v2
.LBB7_33:                               ;   in Loop: Header=BB7_19 Depth=1
	s_or_b32 exec_lo, exec_lo, s0
	s_waitcnt lgkmcnt(0)
	v_cmp_ngt_f64_e64 s0, v[17:18], v[19:20]
	v_mov_b32_e32 v2, v5
	v_lshlrev_b64 v[3:4], 3, v[4:5]
                                        ; implicit-def: $vgpr36
	s_delay_alu instid0(VALU_DEP_2) | instskip(NEXT) | instid1(VALU_DEP_2)
	v_lshlrev_b64 v[1:2], 3, v[1:2]
	v_add_co_u32 v3, s1, s6, v3
	s_delay_alu instid0(VALU_DEP_1) | instskip(NEXT) | instid1(VALU_DEP_2)
	v_add_co_ci_u32_e64 v4, s1, s7, v4, s1
	v_add_co_u32 v1, s1, v3, v1
	s_delay_alu instid0(VALU_DEP_1) | instskip(NEXT) | instid1(VALU_DEP_2)
	v_add_co_ci_u32_e64 v2, s1, v4, v2, s1
	v_add_co_u32 v15, s1, v1, v33
	s_delay_alu instid0(VALU_DEP_1) | instskip(SKIP_2) | instid1(SALU_CYCLE_1)
	v_add_co_ci_u32_e64 v16, s1, 0, v2, s1
                                        ; implicit-def: $vgpr1_vgpr2
	global_store_b64 v[15:16], v[13:14], off
	s_and_saveexec_b32 s1, s0
	s_xor_b32 s0, exec_lo, s1
	s_cbranch_execz .LBB7_35
; %bb.34:                               ;   in Loop: Header=BB7_19 Depth=1
	v_lshlrev_b32_e32 v1, 3, v35
	v_add_nc_u32_e32 v36, 1, v35
                                        ; implicit-def: $vgpr35
	ds_load_b64 v[1:2], v1 offset:8
.LBB7_35:                               ;   in Loop: Header=BB7_19 Depth=1
	s_or_saveexec_b32 s0, s0
	v_dual_mov_b32 v3, v19 :: v_dual_mov_b32 v4, v20
	s_xor_b32 exec_lo, exec_lo, s0
	s_cbranch_execz .LBB7_37
; %bb.36:                               ;   in Loop: Header=BB7_19 Depth=1
	s_waitcnt lgkmcnt(0)
	v_dual_mov_b32 v36, v35 :: v_dual_lshlrev_b32 v1, 3, v34
	v_add_nc_u32_e32 v34, 1, v34
	ds_load_b64 v[3:4], v1 offset:4120
	v_dual_mov_b32 v1, v17 :: v_dual_mov_b32 v2, v18
	v_dual_mov_b32 v17, v19 :: v_dual_mov_b32 v18, v20
.LBB7_37:                               ;   in Loop: Header=BB7_19 Depth=1
	s_or_b32 exec_lo, exec_lo, s0
	s_waitcnt lgkmcnt(0)
	s_delay_alu instid0(VALU_DEP_2) | instskip(SKIP_2) | instid1(SALU_CYCLE_1)
	v_cmp_ngt_f64_e64 s0, v[1:2], v[3:4]
	global_store_b64 v[15:16], v[17:18], off offset:8
                                        ; implicit-def: $vgpr13_vgpr14
                                        ; implicit-def: $vgpr19
	s_and_saveexec_b32 s1, s0
	s_xor_b32 s0, exec_lo, s1
	s_cbranch_execz .LBB7_39
; %bb.38:                               ;   in Loop: Header=BB7_19 Depth=1
	v_lshlrev_b32_e32 v13, 3, v36
	v_add_nc_u32_e32 v19, 1, v36
                                        ; implicit-def: $vgpr36
	ds_load_b64 v[13:14], v13 offset:8
.LBB7_39:                               ;   in Loop: Header=BB7_19 Depth=1
	s_or_saveexec_b32 s0, s0
	v_dual_mov_b32 v18, v4 :: v_dual_mov_b32 v17, v3
	s_xor_b32 exec_lo, exec_lo, s0
	s_cbranch_execz .LBB7_41
; %bb.40:                               ;   in Loop: Header=BB7_19 Depth=1
	s_waitcnt lgkmcnt(0)
	v_lshlrev_b32_e32 v13, 3, v34
	v_dual_mov_b32 v19, v36 :: v_dual_add_nc_u32 v34, 1, v34
	ds_load_b64 v[17:18], v13 offset:4120
	v_dual_mov_b32 v14, v2 :: v_dual_mov_b32 v13, v1
	v_dual_mov_b32 v1, v3 :: v_dual_mov_b32 v2, v4
.LBB7_41:                               ;   in Loop: Header=BB7_19 Depth=1
	s_or_b32 exec_lo, exec_lo, s0
	s_waitcnt lgkmcnt(0)
	s_delay_alu instid0(VALU_DEP_2) | instskip(NEXT) | instid1(VALU_DEP_1)
	v_cmp_gt_f64_e64 s0, v[13:14], v[17:18]
	v_cndmask_b32_e64 v4, v14, v18, s0
	v_cndmask_b32_e64 v3, v13, v17, s0
	global_store_b128 v[15:16], v[1:4], off offset:16
	s_and_saveexec_b32 s0, vcc_lo
	s_cbranch_execz .LBB7_17
; %bb.42:                               ;   in Loop: Header=BB7_19 Depth=1
	v_dual_mov_b32 v1, s4 :: v_dual_mov_b32 v2, s5
	s_mov_b32 s9, s5
	flat_load_b32 v3, v[1:2] glc dlc
	s_waitcnt vmcnt(0) lgkmcnt(0)
	v_add3_u32 v13, v19, v3, -1
	v_dual_mov_b32 v3, s8 :: v_dual_mov_b32 v4, s9
	flat_store_b32 v[1:2], v13 dlc
	s_waitcnt_vscnt null, 0x0
	flat_load_b32 v1, v[3:4] glc dlc
	s_waitcnt vmcnt(0) lgkmcnt(0)
	v_add3_u32 v1, v34, v1, -1
	flat_store_b32 v[3:4], v1 dlc
	s_waitcnt_vscnt null, 0x0
	s_branch .LBB7_17
.LBB7_43:
	s_endpgm
	.section	.rodata,"a",@progbits
	.p2align	6, 0x0
	.amdhsa_kernel _Z15mergeSinglePathIdLb0ELb0EEvPKT_jS2_jPKjPS0_j
		.amdhsa_group_segment_fixed_size 8240
		.amdhsa_private_segment_fixed_size 0
		.amdhsa_kernarg_size 312
		.amdhsa_user_sgpr_count 15
		.amdhsa_user_sgpr_dispatch_ptr 0
		.amdhsa_user_sgpr_queue_ptr 0
		.amdhsa_user_sgpr_kernarg_segment_ptr 1
		.amdhsa_user_sgpr_dispatch_id 0
		.amdhsa_user_sgpr_private_segment_size 0
		.amdhsa_wavefront_size32 1
		.amdhsa_uses_dynamic_stack 0
		.amdhsa_enable_private_segment 0
		.amdhsa_system_sgpr_workgroup_id_x 1
		.amdhsa_system_sgpr_workgroup_id_y 0
		.amdhsa_system_sgpr_workgroup_id_z 0
		.amdhsa_system_sgpr_workgroup_info 0
		.amdhsa_system_vgpr_workitem_id 0
		.amdhsa_next_free_vgpr 48
		.amdhsa_next_free_sgpr 17
		.amdhsa_reserve_vcc 1
		.amdhsa_float_round_mode_32 0
		.amdhsa_float_round_mode_16_64 0
		.amdhsa_float_denorm_mode_32 3
		.amdhsa_float_denorm_mode_16_64 3
		.amdhsa_dx10_clamp 1
		.amdhsa_ieee_mode 1
		.amdhsa_fp16_overflow 0
		.amdhsa_workgroup_processor_mode 1
		.amdhsa_memory_ordered 1
		.amdhsa_forward_progress 0
		.amdhsa_shared_vgpr_count 0
		.amdhsa_exception_fp_ieee_invalid_op 0
		.amdhsa_exception_fp_denorm_src 0
		.amdhsa_exception_fp_ieee_div_zero 0
		.amdhsa_exception_fp_ieee_overflow 0
		.amdhsa_exception_fp_ieee_underflow 0
		.amdhsa_exception_fp_ieee_inexact 0
		.amdhsa_exception_int_div_zero 0
	.end_amdhsa_kernel
	.section	.text._Z15mergeSinglePathIdLb0ELb0EEvPKT_jS2_jPKjPS0_j,"axG",@progbits,_Z15mergeSinglePathIdLb0ELb0EEvPKT_jS2_jPKjPS0_j,comdat
.Lfunc_end7:
	.size	_Z15mergeSinglePathIdLb0ELb0EEvPKT_jS2_jPKjPS0_j, .Lfunc_end7-_Z15mergeSinglePathIdLb0ELb0EEvPKT_jS2_jPKjPS0_j
                                        ; -- End function
	.section	.AMDGPU.csdata,"",@progbits
; Kernel info:
; codeLenInByte = 2236
; NumSgprs: 19
; NumVgprs: 48
; ScratchSize: 0
; MemoryBound: 0
; FloatMode: 240
; IeeeMode: 1
; LDSByteSize: 8240 bytes/workgroup (compile time only)
; SGPRBlocks: 2
; VGPRBlocks: 5
; NumSGPRsForWavesPerEU: 19
; NumVGPRsForWavesPerEU: 48
; Occupancy: 16
; WaveLimiterHint : 1
; COMPUTE_PGM_RSRC2:SCRATCH_EN: 0
; COMPUTE_PGM_RSRC2:USER_SGPR: 15
; COMPUTE_PGM_RSRC2:TRAP_HANDLER: 0
; COMPUTE_PGM_RSRC2:TGID_X_EN: 1
; COMPUTE_PGM_RSRC2:TGID_Y_EN: 0
; COMPUTE_PGM_RSRC2:TGID_Z_EN: 0
; COMPUTE_PGM_RSRC2:TIDIG_COMP_CNT: 0
	.text
	.p2alignl 7, 3214868480
	.fill 96, 4, 3214868480
	.type	__hip_cuid_6a18d0a692a193a4,@object ; @__hip_cuid_6a18d0a692a193a4
	.section	.bss,"aw",@nobits
	.globl	__hip_cuid_6a18d0a692a193a4
__hip_cuid_6a18d0a692a193a4:
	.byte	0                               ; 0x0
	.size	__hip_cuid_6a18d0a692a193a4, 1

	.ident	"AMD clang version 19.0.0git (https://github.com/RadeonOpenCompute/llvm-project roc-6.4.0 25133 c7fe45cf4b819c5991fe208aaa96edf142730f1d)"
	.section	".note.GNU-stack","",@progbits
	.addrsig
	.addrsig_sym __hip_cuid_6a18d0a692a193a4
	.amdgpu_metadata
---
amdhsa.kernels:
  - .args:
      - .actual_access:  read_only
        .address_space:  global
        .offset:         0
        .size:           8
        .value_kind:     global_buffer
      - .offset:         8
        .size:           4
        .value_kind:     by_value
      - .actual_access:  read_only
        .address_space:  global
        .offset:         16
        .size:           8
        .value_kind:     global_buffer
      - .offset:         24
        .size:           4
        .value_kind:     by_value
      - .actual_access:  write_only
        .address_space:  global
        .offset:         32
        .size:           8
        .value_kind:     global_buffer
      - .offset:         40
        .size:           4
        .value_kind:     hidden_block_count_x
      - .offset:         44
        .size:           4
        .value_kind:     hidden_block_count_y
      - .offset:         48
        .size:           4
        .value_kind:     hidden_block_count_z
      - .offset:         52
        .size:           2
        .value_kind:     hidden_group_size_x
      - .offset:         54
        .size:           2
        .value_kind:     hidden_group_size_y
      - .offset:         56
        .size:           2
        .value_kind:     hidden_group_size_z
      - .offset:         58
        .size:           2
        .value_kind:     hidden_remainder_x
      - .offset:         60
        .size:           2
        .value_kind:     hidden_remainder_y
      - .offset:         62
        .size:           2
        .value_kind:     hidden_remainder_z
      - .offset:         80
        .size:           8
        .value_kind:     hidden_global_offset_x
      - .offset:         88
        .size:           8
        .value_kind:     hidden_global_offset_y
      - .offset:         96
        .size:           8
        .value_kind:     hidden_global_offset_z
      - .offset:         104
        .size:           2
        .value_kind:     hidden_grid_dims
    .group_segment_fixed_size: 148
    .kernarg_segment_align: 8
    .kernarg_segment_size: 296
    .language:       OpenCL C
    .language_version:
      - 2
      - 0
    .max_flat_workgroup_size: 1024
    .name:           _Z17workloadDiagonalsIjEvPKT_jS2_jPj
    .private_segment_fixed_size: 0
    .sgpr_count:     28
    .sgpr_spill_count: 0
    .symbol:         _Z17workloadDiagonalsIjEvPKT_jS2_jPj.kd
    .uniform_work_group_size: 1
    .uses_dynamic_stack: false
    .vgpr_count:     25
    .vgpr_spill_count: 0
    .wavefront_size: 32
    .workgroup_processor_mode: 1
  - .args:
      - .actual_access:  read_only
        .address_space:  global
        .offset:         0
        .size:           8
        .value_kind:     global_buffer
      - .offset:         8
        .size:           4
        .value_kind:     by_value
      - .actual_access:  read_only
        .address_space:  global
        .offset:         16
        .size:           8
        .value_kind:     global_buffer
      - .offset:         24
        .size:           4
        .value_kind:     by_value
      - .actual_access:  read_only
        .address_space:  global
        .offset:         32
        .size:           8
        .value_kind:     global_buffer
      - .actual_access:  write_only
        .address_space:  global
        .offset:         40
        .size:           8
        .value_kind:     global_buffer
      - .offset:         48
        .size:           4
        .value_kind:     by_value
      - .offset:         56
        .size:           4
        .value_kind:     hidden_block_count_x
      - .offset:         60
        .size:           4
        .value_kind:     hidden_block_count_y
      - .offset:         64
        .size:           4
        .value_kind:     hidden_block_count_z
      - .offset:         68
        .size:           2
        .value_kind:     hidden_group_size_x
      - .offset:         70
        .size:           2
        .value_kind:     hidden_group_size_y
      - .offset:         72
        .size:           2
        .value_kind:     hidden_group_size_z
      - .offset:         74
        .size:           2
        .value_kind:     hidden_remainder_x
      - .offset:         76
        .size:           2
        .value_kind:     hidden_remainder_y
      - .offset:         78
        .size:           2
        .value_kind:     hidden_remainder_z
      - .offset:         96
        .size:           8
        .value_kind:     hidden_global_offset_x
      - .offset:         104
        .size:           8
        .value_kind:     hidden_global_offset_y
      - .offset:         112
        .size:           8
        .value_kind:     hidden_global_offset_z
      - .offset:         120
        .size:           2
        .value_kind:     hidden_grid_dims
    .group_segment_fixed_size: 4128
    .kernarg_segment_align: 8
    .kernarg_segment_size: 312
    .language:       OpenCL C
    .language_version:
      - 2
      - 0
    .max_flat_workgroup_size: 1024
    .name:           _Z15mergeSinglePathIjLb0ELb0EEvPKT_jS2_jPKjPS0_j
    .private_segment_fixed_size: 0
    .sgpr_count:     19
    .sgpr_spill_count: 0
    .symbol:         _Z15mergeSinglePathIjLb0ELb0EEvPKT_jS2_jPKjPS0_j.kd
    .uniform_work_group_size: 1
    .uses_dynamic_stack: false
    .vgpr_count:     39
    .vgpr_spill_count: 0
    .wavefront_size: 32
    .workgroup_processor_mode: 1
  - .args:
      - .actual_access:  read_only
        .address_space:  global
        .offset:         0
        .size:           8
        .value_kind:     global_buffer
      - .offset:         8
        .size:           4
        .value_kind:     by_value
      - .actual_access:  read_only
        .address_space:  global
        .offset:         16
        .size:           8
        .value_kind:     global_buffer
      - .offset:         24
        .size:           4
        .value_kind:     by_value
      - .actual_access:  write_only
        .address_space:  global
        .offset:         32
        .size:           8
        .value_kind:     global_buffer
      - .offset:         40
        .size:           4
        .value_kind:     hidden_block_count_x
      - .offset:         44
        .size:           4
        .value_kind:     hidden_block_count_y
      - .offset:         48
        .size:           4
        .value_kind:     hidden_block_count_z
      - .offset:         52
        .size:           2
        .value_kind:     hidden_group_size_x
      - .offset:         54
        .size:           2
        .value_kind:     hidden_group_size_y
      - .offset:         56
        .size:           2
        .value_kind:     hidden_group_size_z
      - .offset:         58
        .size:           2
        .value_kind:     hidden_remainder_x
      - .offset:         60
        .size:           2
        .value_kind:     hidden_remainder_y
      - .offset:         62
        .size:           2
        .value_kind:     hidden_remainder_z
      - .offset:         80
        .size:           8
        .value_kind:     hidden_global_offset_x
      - .offset:         88
        .size:           8
        .value_kind:     hidden_global_offset_y
      - .offset:         96
        .size:           8
        .value_kind:     hidden_global_offset_z
      - .offset:         104
        .size:           2
        .value_kind:     hidden_grid_dims
    .group_segment_fixed_size: 148
    .kernarg_segment_align: 8
    .kernarg_segment_size: 296
    .language:       OpenCL C
    .language_version:
      - 2
      - 0
    .max_flat_workgroup_size: 1024
    .name:           _Z17workloadDiagonalsIfEvPKT_jS2_jPj
    .private_segment_fixed_size: 0
    .sgpr_count:     28
    .sgpr_spill_count: 0
    .symbol:         _Z17workloadDiagonalsIfEvPKT_jS2_jPj.kd
    .uniform_work_group_size: 1
    .uses_dynamic_stack: false
    .vgpr_count:     25
    .vgpr_spill_count: 0
    .wavefront_size: 32
    .workgroup_processor_mode: 1
  - .args:
      - .actual_access:  read_only
        .address_space:  global
        .offset:         0
        .size:           8
        .value_kind:     global_buffer
      - .offset:         8
        .size:           4
        .value_kind:     by_value
      - .actual_access:  read_only
        .address_space:  global
        .offset:         16
        .size:           8
        .value_kind:     global_buffer
      - .offset:         24
        .size:           4
        .value_kind:     by_value
      - .actual_access:  read_only
        .address_space:  global
        .offset:         32
        .size:           8
        .value_kind:     global_buffer
      - .actual_access:  write_only
        .address_space:  global
        .offset:         40
        .size:           8
        .value_kind:     global_buffer
      - .offset:         48
        .size:           4
        .value_kind:     by_value
      - .offset:         56
        .size:           4
        .value_kind:     hidden_block_count_x
      - .offset:         60
        .size:           4
        .value_kind:     hidden_block_count_y
      - .offset:         64
        .size:           4
        .value_kind:     hidden_block_count_z
      - .offset:         68
        .size:           2
        .value_kind:     hidden_group_size_x
      - .offset:         70
        .size:           2
        .value_kind:     hidden_group_size_y
      - .offset:         72
        .size:           2
        .value_kind:     hidden_group_size_z
      - .offset:         74
        .size:           2
        .value_kind:     hidden_remainder_x
      - .offset:         76
        .size:           2
        .value_kind:     hidden_remainder_y
      - .offset:         78
        .size:           2
        .value_kind:     hidden_remainder_z
      - .offset:         96
        .size:           8
        .value_kind:     hidden_global_offset_x
      - .offset:         104
        .size:           8
        .value_kind:     hidden_global_offset_y
      - .offset:         112
        .size:           8
        .value_kind:     hidden_global_offset_z
      - .offset:         120
        .size:           2
        .value_kind:     hidden_grid_dims
    .group_segment_fixed_size: 4128
    .kernarg_segment_align: 8
    .kernarg_segment_size: 312
    .language:       OpenCL C
    .language_version:
      - 2
      - 0
    .max_flat_workgroup_size: 1024
    .name:           _Z15mergeSinglePathIfLb0ELb0EEvPKT_jS2_jPKjPS0_j
    .private_segment_fixed_size: 0
    .sgpr_count:     19
    .sgpr_spill_count: 0
    .symbol:         _Z15mergeSinglePathIfLb0ELb0EEvPKT_jS2_jPKjPS0_j.kd
    .uniform_work_group_size: 1
    .uses_dynamic_stack: false
    .vgpr_count:     39
    .vgpr_spill_count: 0
    .wavefront_size: 32
    .workgroup_processor_mode: 1
  - .args:
      - .actual_access:  read_only
        .address_space:  global
        .offset:         0
        .size:           8
        .value_kind:     global_buffer
      - .offset:         8
        .size:           4
        .value_kind:     by_value
      - .actual_access:  read_only
        .address_space:  global
        .offset:         16
        .size:           8
        .value_kind:     global_buffer
      - .offset:         24
        .size:           4
        .value_kind:     by_value
      - .actual_access:  write_only
        .address_space:  global
        .offset:         32
        .size:           8
        .value_kind:     global_buffer
      - .offset:         40
        .size:           4
        .value_kind:     hidden_block_count_x
      - .offset:         44
        .size:           4
        .value_kind:     hidden_block_count_y
      - .offset:         48
        .size:           4
        .value_kind:     hidden_block_count_z
      - .offset:         52
        .size:           2
        .value_kind:     hidden_group_size_x
      - .offset:         54
        .size:           2
        .value_kind:     hidden_group_size_y
      - .offset:         56
        .size:           2
        .value_kind:     hidden_group_size_z
      - .offset:         58
        .size:           2
        .value_kind:     hidden_remainder_x
      - .offset:         60
        .size:           2
        .value_kind:     hidden_remainder_y
      - .offset:         62
        .size:           2
        .value_kind:     hidden_remainder_z
      - .offset:         80
        .size:           8
        .value_kind:     hidden_global_offset_x
      - .offset:         88
        .size:           8
        .value_kind:     hidden_global_offset_y
      - .offset:         96
        .size:           8
        .value_kind:     hidden_global_offset_z
      - .offset:         104
        .size:           2
        .value_kind:     hidden_grid_dims
    .group_segment_fixed_size: 148
    .kernarg_segment_align: 8
    .kernarg_segment_size: 296
    .language:       OpenCL C
    .language_version:
      - 2
      - 0
    .max_flat_workgroup_size: 1024
    .name:           _Z17workloadDiagonalsImEvPKT_jS2_jPj
    .private_segment_fixed_size: 0
    .sgpr_count:     28
    .sgpr_spill_count: 0
    .symbol:         _Z17workloadDiagonalsImEvPKT_jS2_jPj.kd
    .uniform_work_group_size: 1
    .uses_dynamic_stack: false
    .vgpr_count:     25
    .vgpr_spill_count: 0
    .wavefront_size: 32
    .workgroup_processor_mode: 1
  - .args:
      - .actual_access:  read_only
        .address_space:  global
        .offset:         0
        .size:           8
        .value_kind:     global_buffer
      - .offset:         8
        .size:           4
        .value_kind:     by_value
      - .actual_access:  read_only
        .address_space:  global
        .offset:         16
        .size:           8
        .value_kind:     global_buffer
      - .offset:         24
        .size:           4
        .value_kind:     by_value
      - .actual_access:  read_only
        .address_space:  global
        .offset:         32
        .size:           8
        .value_kind:     global_buffer
      - .actual_access:  write_only
        .address_space:  global
        .offset:         40
        .size:           8
        .value_kind:     global_buffer
      - .offset:         48
        .size:           4
        .value_kind:     by_value
      - .offset:         56
        .size:           4
        .value_kind:     hidden_block_count_x
      - .offset:         60
        .size:           4
        .value_kind:     hidden_block_count_y
      - .offset:         64
        .size:           4
        .value_kind:     hidden_block_count_z
      - .offset:         68
        .size:           2
        .value_kind:     hidden_group_size_x
      - .offset:         70
        .size:           2
        .value_kind:     hidden_group_size_y
      - .offset:         72
        .size:           2
        .value_kind:     hidden_group_size_z
      - .offset:         74
        .size:           2
        .value_kind:     hidden_remainder_x
      - .offset:         76
        .size:           2
        .value_kind:     hidden_remainder_y
      - .offset:         78
        .size:           2
        .value_kind:     hidden_remainder_z
      - .offset:         96
        .size:           8
        .value_kind:     hidden_global_offset_x
      - .offset:         104
        .size:           8
        .value_kind:     hidden_global_offset_y
      - .offset:         112
        .size:           8
        .value_kind:     hidden_global_offset_z
      - .offset:         120
        .size:           2
        .value_kind:     hidden_grid_dims
    .group_segment_fixed_size: 8240
    .kernarg_segment_align: 8
    .kernarg_segment_size: 312
    .language:       OpenCL C
    .language_version:
      - 2
      - 0
    .max_flat_workgroup_size: 1024
    .name:           _Z15mergeSinglePathImLb0ELb0EEvPKT_jS2_jPKjPS0_j
    .private_segment_fixed_size: 0
    .sgpr_count:     19
    .sgpr_spill_count: 0
    .symbol:         _Z15mergeSinglePathImLb0ELb0EEvPKT_jS2_jPKjPS0_j.kd
    .uniform_work_group_size: 1
    .uses_dynamic_stack: false
    .vgpr_count:     48
    .vgpr_spill_count: 0
    .wavefront_size: 32
    .workgroup_processor_mode: 1
  - .args:
      - .actual_access:  read_only
        .address_space:  global
        .offset:         0
        .size:           8
        .value_kind:     global_buffer
      - .offset:         8
        .size:           4
        .value_kind:     by_value
      - .actual_access:  read_only
        .address_space:  global
        .offset:         16
        .size:           8
        .value_kind:     global_buffer
      - .offset:         24
        .size:           4
        .value_kind:     by_value
      - .actual_access:  write_only
        .address_space:  global
        .offset:         32
        .size:           8
        .value_kind:     global_buffer
      - .offset:         40
        .size:           4
        .value_kind:     hidden_block_count_x
      - .offset:         44
        .size:           4
        .value_kind:     hidden_block_count_y
      - .offset:         48
        .size:           4
        .value_kind:     hidden_block_count_z
      - .offset:         52
        .size:           2
        .value_kind:     hidden_group_size_x
      - .offset:         54
        .size:           2
        .value_kind:     hidden_group_size_y
      - .offset:         56
        .size:           2
        .value_kind:     hidden_group_size_z
      - .offset:         58
        .size:           2
        .value_kind:     hidden_remainder_x
      - .offset:         60
        .size:           2
        .value_kind:     hidden_remainder_y
      - .offset:         62
        .size:           2
        .value_kind:     hidden_remainder_z
      - .offset:         80
        .size:           8
        .value_kind:     hidden_global_offset_x
      - .offset:         88
        .size:           8
        .value_kind:     hidden_global_offset_y
      - .offset:         96
        .size:           8
        .value_kind:     hidden_global_offset_z
      - .offset:         104
        .size:           2
        .value_kind:     hidden_grid_dims
    .group_segment_fixed_size: 148
    .kernarg_segment_align: 8
    .kernarg_segment_size: 296
    .language:       OpenCL C
    .language_version:
      - 2
      - 0
    .max_flat_workgroup_size: 1024
    .name:           _Z17workloadDiagonalsIdEvPKT_jS2_jPj
    .private_segment_fixed_size: 0
    .sgpr_count:     28
    .sgpr_spill_count: 0
    .symbol:         _Z17workloadDiagonalsIdEvPKT_jS2_jPj.kd
    .uniform_work_group_size: 1
    .uses_dynamic_stack: false
    .vgpr_count:     25
    .vgpr_spill_count: 0
    .wavefront_size: 32
    .workgroup_processor_mode: 1
  - .args:
      - .actual_access:  read_only
        .address_space:  global
        .offset:         0
        .size:           8
        .value_kind:     global_buffer
      - .offset:         8
        .size:           4
        .value_kind:     by_value
      - .actual_access:  read_only
        .address_space:  global
        .offset:         16
        .size:           8
        .value_kind:     global_buffer
      - .offset:         24
        .size:           4
        .value_kind:     by_value
      - .actual_access:  read_only
        .address_space:  global
        .offset:         32
        .size:           8
        .value_kind:     global_buffer
      - .actual_access:  write_only
        .address_space:  global
        .offset:         40
        .size:           8
        .value_kind:     global_buffer
      - .offset:         48
        .size:           4
        .value_kind:     by_value
      - .offset:         56
        .size:           4
        .value_kind:     hidden_block_count_x
      - .offset:         60
        .size:           4
        .value_kind:     hidden_block_count_y
      - .offset:         64
        .size:           4
        .value_kind:     hidden_block_count_z
      - .offset:         68
        .size:           2
        .value_kind:     hidden_group_size_x
      - .offset:         70
        .size:           2
        .value_kind:     hidden_group_size_y
      - .offset:         72
        .size:           2
        .value_kind:     hidden_group_size_z
      - .offset:         74
        .size:           2
        .value_kind:     hidden_remainder_x
      - .offset:         76
        .size:           2
        .value_kind:     hidden_remainder_y
      - .offset:         78
        .size:           2
        .value_kind:     hidden_remainder_z
      - .offset:         96
        .size:           8
        .value_kind:     hidden_global_offset_x
      - .offset:         104
        .size:           8
        .value_kind:     hidden_global_offset_y
      - .offset:         112
        .size:           8
        .value_kind:     hidden_global_offset_z
      - .offset:         120
        .size:           2
        .value_kind:     hidden_grid_dims
    .group_segment_fixed_size: 8240
    .kernarg_segment_align: 8
    .kernarg_segment_size: 312
    .language:       OpenCL C
    .language_version:
      - 2
      - 0
    .max_flat_workgroup_size: 1024
    .name:           _Z15mergeSinglePathIdLb0ELb0EEvPKT_jS2_jPKjPS0_j
    .private_segment_fixed_size: 0
    .sgpr_count:     19
    .sgpr_spill_count: 0
    .symbol:         _Z15mergeSinglePathIdLb0ELb0EEvPKT_jS2_jPKjPS0_j.kd
    .uniform_work_group_size: 1
    .uses_dynamic_stack: false
    .vgpr_count:     48
    .vgpr_spill_count: 0
    .wavefront_size: 32
    .workgroup_processor_mode: 1
amdhsa.target:   amdgcn-amd-amdhsa--gfx1100
amdhsa.version:
  - 1
  - 2
...

	.end_amdgpu_metadata
